;; amdgpu-corpus repo=ROCm/rocFFT kind=compiled arch=gfx950 opt=O3
	.text
	.amdgcn_target "amdgcn-amd-amdhsa--gfx950"
	.amdhsa_code_object_version 6
	.protected	fft_rtc_back_len1287_factors_3_13_3_11_wgs_117_tpt_117_sp_ip_CI_unitstride_sbrr_dirReg ; -- Begin function fft_rtc_back_len1287_factors_3_13_3_11_wgs_117_tpt_117_sp_ip_CI_unitstride_sbrr_dirReg
	.globl	fft_rtc_back_len1287_factors_3_13_3_11_wgs_117_tpt_117_sp_ip_CI_unitstride_sbrr_dirReg
	.p2align	8
	.type	fft_rtc_back_len1287_factors_3_13_3_11_wgs_117_tpt_117_sp_ip_CI_unitstride_sbrr_dirReg,@function
fft_rtc_back_len1287_factors_3_13_3_11_wgs_117_tpt_117_sp_ip_CI_unitstride_sbrr_dirReg: ; @fft_rtc_back_len1287_factors_3_13_3_11_wgs_117_tpt_117_sp_ip_CI_unitstride_sbrr_dirReg
; %bb.0:
	s_load_dwordx2 s[4:5], s[0:1], 0x50
	s_load_dwordx4 s[8:11], s[0:1], 0x0
	s_load_dwordx2 s[6:7], s[0:1], 0x18
	v_mul_u32_u24_e32 v1, 0x231, v0
	v_add_u32_sdwa v6, s2, v1 dst_sel:DWORD dst_unused:UNUSED_PAD src0_sel:DWORD src1_sel:WORD_1
	v_mov_b32_e32 v4, 0
	s_waitcnt lgkmcnt(0)
	v_cmp_lt_u64_e64 s[2:3], s[10:11], 2
	v_mov_b32_e32 v7, v4
	s_and_b64 vcc, exec, s[2:3]
	v_mov_b64_e32 v[2:3], 0
	s_cbranch_vccnz .LBB0_8
; %bb.1:
	s_load_dwordx2 s[2:3], s[0:1], 0x10
	s_add_u32 s12, s6, 8
	s_addc_u32 s13, s7, 0
	s_mov_b64 s[14:15], 1
	v_mov_b64_e32 v[2:3], 0
	s_waitcnt lgkmcnt(0)
	s_add_u32 s16, s2, 8
	s_addc_u32 s17, s3, 0
.LBB0_2:                                ; =>This Inner Loop Header: Depth=1
	s_load_dwordx2 s[18:19], s[16:17], 0x0
                                        ; implicit-def: $vgpr8_vgpr9
	s_waitcnt lgkmcnt(0)
	v_or_b32_e32 v5, s19, v7
	v_cmp_ne_u64_e32 vcc, 0, v[4:5]
	s_and_saveexec_b64 s[2:3], vcc
	s_xor_b64 s[20:21], exec, s[2:3]
	s_cbranch_execz .LBB0_4
; %bb.3:                                ;   in Loop: Header=BB0_2 Depth=1
	v_cvt_f32_u32_e32 v1, s18
	v_cvt_f32_u32_e32 v5, s19
	s_sub_u32 s2, 0, s18
	s_subb_u32 s3, 0, s19
	v_fmac_f32_e32 v1, 0x4f800000, v5
	v_rcp_f32_e32 v1, v1
	s_nop 0
	v_mul_f32_e32 v1, 0x5f7ffffc, v1
	v_mul_f32_e32 v5, 0x2f800000, v1
	v_trunc_f32_e32 v5, v5
	v_fmac_f32_e32 v1, 0xcf800000, v5
	v_cvt_u32_f32_e32 v5, v5
	v_cvt_u32_f32_e32 v1, v1
	v_mul_lo_u32 v8, s2, v5
	v_mul_hi_u32 v10, s2, v1
	v_mul_lo_u32 v9, s3, v1
	v_add_u32_e32 v10, v10, v8
	v_mul_lo_u32 v12, s2, v1
	v_add_u32_e32 v13, v10, v9
	v_mul_hi_u32 v8, v1, v12
	v_mul_hi_u32 v11, v1, v13
	v_mul_lo_u32 v10, v1, v13
	v_mov_b32_e32 v9, v4
	v_lshl_add_u64 v[8:9], v[8:9], 0, v[10:11]
	v_mul_hi_u32 v11, v5, v12
	v_mul_lo_u32 v12, v5, v12
	v_add_co_u32_e32 v8, vcc, v8, v12
	v_mul_hi_u32 v10, v5, v13
	s_nop 0
	v_addc_co_u32_e32 v8, vcc, v9, v11, vcc
	v_mov_b32_e32 v9, v4
	s_nop 0
	v_addc_co_u32_e32 v11, vcc, 0, v10, vcc
	v_mul_lo_u32 v10, v5, v13
	v_lshl_add_u64 v[8:9], v[8:9], 0, v[10:11]
	v_add_co_u32_e32 v1, vcc, v1, v8
	v_mul_lo_u32 v10, s2, v1
	s_nop 0
	v_addc_co_u32_e32 v5, vcc, v5, v9, vcc
	v_mul_lo_u32 v8, s2, v5
	v_mul_hi_u32 v9, s2, v1
	v_add_u32_e32 v8, v9, v8
	v_mul_lo_u32 v9, s3, v1
	v_add_u32_e32 v12, v8, v9
	v_mul_hi_u32 v14, v5, v10
	v_mul_lo_u32 v15, v5, v10
	v_mul_hi_u32 v9, v1, v12
	v_mul_lo_u32 v8, v1, v12
	v_mul_hi_u32 v10, v1, v10
	v_mov_b32_e32 v11, v4
	v_lshl_add_u64 v[8:9], v[10:11], 0, v[8:9]
	v_add_co_u32_e32 v8, vcc, v8, v15
	v_mul_hi_u32 v13, v5, v12
	s_nop 0
	v_addc_co_u32_e32 v8, vcc, v9, v14, vcc
	v_mul_lo_u32 v10, v5, v12
	s_nop 0
	v_addc_co_u32_e32 v11, vcc, 0, v13, vcc
	v_mov_b32_e32 v9, v4
	v_lshl_add_u64 v[8:9], v[8:9], 0, v[10:11]
	v_add_co_u32_e32 v1, vcc, v1, v8
	v_mul_hi_u32 v10, v6, v1
	s_nop 0
	v_addc_co_u32_e32 v5, vcc, v5, v9, vcc
	v_mad_u64_u32 v[8:9], s[2:3], v6, v5, 0
	v_mov_b32_e32 v11, v4
	v_lshl_add_u64 v[8:9], v[10:11], 0, v[8:9]
	v_mad_u64_u32 v[12:13], s[2:3], v7, v1, 0
	v_add_co_u32_e32 v1, vcc, v8, v12
	v_mad_u64_u32 v[10:11], s[2:3], v7, v5, 0
	s_nop 0
	v_addc_co_u32_e32 v8, vcc, v9, v13, vcc
	v_mov_b32_e32 v9, v4
	s_nop 0
	v_addc_co_u32_e32 v11, vcc, 0, v11, vcc
	v_lshl_add_u64 v[8:9], v[8:9], 0, v[10:11]
	v_mul_lo_u32 v1, s19, v8
	v_mul_lo_u32 v5, s18, v9
	v_mad_u64_u32 v[10:11], s[2:3], s18, v8, 0
	v_add3_u32 v1, v11, v5, v1
	v_sub_u32_e32 v5, v7, v1
	v_mov_b32_e32 v11, s19
	v_sub_co_u32_e32 v14, vcc, v6, v10
	v_lshl_add_u64 v[12:13], v[8:9], 0, 1
	s_nop 0
	v_subb_co_u32_e64 v5, s[2:3], v5, v11, vcc
	v_subrev_co_u32_e64 v10, s[2:3], s18, v14
	v_subb_co_u32_e32 v1, vcc, v7, v1, vcc
	s_nop 0
	v_subbrev_co_u32_e64 v5, s[2:3], 0, v5, s[2:3]
	v_cmp_le_u32_e64 s[2:3], s19, v5
	v_cmp_le_u32_e32 vcc, s19, v1
	s_nop 0
	v_cndmask_b32_e64 v11, 0, -1, s[2:3]
	v_cmp_le_u32_e64 s[2:3], s18, v10
	s_nop 1
	v_cndmask_b32_e64 v10, 0, -1, s[2:3]
	v_cmp_eq_u32_e64 s[2:3], s19, v5
	s_nop 1
	v_cndmask_b32_e64 v5, v11, v10, s[2:3]
	v_lshl_add_u64 v[10:11], v[8:9], 0, 2
	v_cmp_ne_u32_e64 s[2:3], 0, v5
	s_nop 1
	v_cndmask_b32_e64 v5, v13, v11, s[2:3]
	v_cndmask_b32_e64 v11, 0, -1, vcc
	v_cmp_le_u32_e32 vcc, s18, v14
	s_nop 1
	v_cndmask_b32_e64 v13, 0, -1, vcc
	v_cmp_eq_u32_e32 vcc, s19, v1
	s_nop 1
	v_cndmask_b32_e32 v1, v11, v13, vcc
	v_cmp_ne_u32_e32 vcc, 0, v1
	v_cndmask_b32_e64 v1, v12, v10, s[2:3]
	s_nop 0
	v_cndmask_b32_e32 v9, v9, v5, vcc
	v_cndmask_b32_e32 v8, v8, v1, vcc
.LBB0_4:                                ;   in Loop: Header=BB0_2 Depth=1
	s_andn2_saveexec_b64 s[2:3], s[20:21]
	s_cbranch_execz .LBB0_6
; %bb.5:                                ;   in Loop: Header=BB0_2 Depth=1
	v_cvt_f32_u32_e32 v1, s18
	s_sub_i32 s20, 0, s18
	v_rcp_iflag_f32_e32 v1, v1
	s_nop 0
	v_mul_f32_e32 v1, 0x4f7ffffe, v1
	v_cvt_u32_f32_e32 v1, v1
	v_mul_lo_u32 v5, s20, v1
	v_mul_hi_u32 v5, v1, v5
	v_add_u32_e32 v1, v1, v5
	v_mul_hi_u32 v1, v6, v1
	v_mul_lo_u32 v5, v1, s18
	v_sub_u32_e32 v5, v6, v5
	v_add_u32_e32 v8, 1, v1
	v_subrev_u32_e32 v9, s18, v5
	v_cmp_le_u32_e32 vcc, s18, v5
	s_nop 1
	v_cndmask_b32_e32 v5, v5, v9, vcc
	v_cndmask_b32_e32 v1, v1, v8, vcc
	v_add_u32_e32 v8, 1, v1
	v_cmp_le_u32_e32 vcc, s18, v5
	v_mov_b32_e32 v9, v4
	s_nop 0
	v_cndmask_b32_e32 v8, v1, v8, vcc
.LBB0_6:                                ;   in Loop: Header=BB0_2 Depth=1
	s_or_b64 exec, exec, s[2:3]
	v_mad_u64_u32 v[10:11], s[2:3], v8, s18, 0
	s_load_dwordx2 s[2:3], s[12:13], 0x0
	v_mul_lo_u32 v1, v9, s18
	v_mul_lo_u32 v5, v8, s19
	v_add3_u32 v1, v11, v5, v1
	v_sub_co_u32_e32 v5, vcc, v6, v10
	s_add_u32 s14, s14, 1
	s_nop 0
	v_subb_co_u32_e32 v1, vcc, v7, v1, vcc
	s_addc_u32 s15, s15, 0
	s_waitcnt lgkmcnt(0)
	v_mul_lo_u32 v1, s2, v1
	v_mul_lo_u32 v6, s3, v5
	v_mad_u64_u32 v[2:3], s[2:3], s2, v5, v[2:3]
	s_add_u32 s12, s12, 8
	v_add3_u32 v3, v6, v3, v1
	s_addc_u32 s13, s13, 0
	v_mov_b64_e32 v[6:7], s[10:11]
	s_add_u32 s16, s16, 8
	v_cmp_ge_u64_e32 vcc, s[14:15], v[6:7]
	s_addc_u32 s17, s17, 0
	s_cbranch_vccnz .LBB0_9
; %bb.7:                                ;   in Loop: Header=BB0_2 Depth=1
	v_mov_b64_e32 v[6:7], v[8:9]
	s_branch .LBB0_2
.LBB0_8:
	v_mov_b64_e32 v[8:9], v[6:7]
.LBB0_9:
	s_lshl_b64 s[2:3], s[10:11], 3
	s_add_u32 s2, s6, s2
	s_addc_u32 s3, s7, s3
	s_load_dwordx2 s[6:7], s[2:3], 0x0
	s_load_dwordx2 s[10:11], s[0:1], 0x20
	s_mov_b32 s2, 0x2302303
	v_mov_b32_e32 v22, 0
                                        ; implicit-def: $vgpr28
                                        ; implicit-def: $vgpr26
                                        ; implicit-def: $vgpr6
                                        ; implicit-def: $vgpr12
                                        ; implicit-def: $vgpr10
                                        ; implicit-def: $vgpr30
                                        ; implicit-def: $vgpr18
                                        ; implicit-def: $vgpr14
                                        ; implicit-def: $vgpr16
	s_waitcnt lgkmcnt(0)
	v_mul_lo_u32 v1, s6, v9
	v_mul_lo_u32 v4, s7, v8
	v_mad_u64_u32 v[2:3], s[0:1], s6, v8, v[2:3]
	v_add3_u32 v3, v4, v3, v1
	v_mul_hi_u32 v1, v0, s2
	v_mul_u32_u24_e32 v1, 0x75, v1
	v_cmp_gt_u64_e64 s[0:1], s[10:11], v[8:9]
	v_sub_u32_e32 v24, v0, v1
	v_lshl_add_u64 v[20:21], v[2:3], 3, s[4:5]
                                        ; implicit-def: $vgpr2
                                        ; implicit-def: $vgpr4
                                        ; implicit-def: $vgpr8
	s_and_saveexec_b64 s[2:3], s[0:1]
	s_cbranch_execz .LBB0_13
; %bb.10:
	v_mov_b32_e32 v25, 0
	v_lshl_add_u64 v[0:1], v[24:25], 3, v[20:21]
	v_add_co_u32_e32 v2, vcc, 0x1000, v0
	s_movk_i32 s4, 0x4e
	s_nop 0
	v_addc_co_u32_e32 v3, vcc, 0, v1, vcc
	global_load_dwordx2 v[4:5], v[0:1], off
	global_load_dwordx2 v[8:9], v[0:1], off offset:936
	global_load_dwordx2 v[10:11], v[2:3], off offset:272
	;; [unrolled: 1-line block ×7, first 2 shown]
	v_add_co_u32_e32 v2, vcc, 0x2000, v0
                                        ; implicit-def: $vgpr27
                                        ; implicit-def: $vgpr29
	s_nop 1
	v_addc_co_u32_e32 v3, vcc, 0, v1, vcc
	global_load_dwordx2 v[18:19], v[2:3], off offset:544
	v_cmp_gt_u32_e32 vcc, s4, v24
                                        ; implicit-def: $vgpr3
	s_and_saveexec_b64 s[4:5], vcc
	s_cbranch_execz .LBB0_12
; %bb.11:
	v_add_co_u32_e32 v22, vcc, 0x1000, v0
	s_nop 1
	v_addc_co_u32_e32 v23, vcc, 0, v1, vcc
	v_add_co_u32_e32 v32, vcc, 0x2000, v0
	s_nop 1
	v_addc_co_u32_e32 v33, vcc, 0, v1, vcc
	global_load_dwordx2 v[26:27], v[0:1], off offset:2808
	global_load_dwordx2 v[2:3], v[22:23], off offset:2144
	;; [unrolled: 1-line block ×3, first 2 shown]
.LBB0_12:
	s_or_b64 exec, exec, s[4:5]
	v_mov_b32_e32 v22, v24
.LBB0_13:
	s_or_b64 exec, exec, s[2:3]
	s_waitcnt vmcnt(0)
	v_pk_add_f32 v[32:33], v[28:29], v[2:3]
	v_pk_add_f32 v[34:35], v[2:3], v[28:29] neg_lo:[0,1] neg_hi:[0,1]
	v_pk_add_f32 v[2:3], v[2:3], v[26:27]
	v_pk_add_f32 v[0:1], v[4:5], v[6:7]
	;; [unrolled: 1-line block ×3, first 2 shown]
	v_pk_fma_f32 v[28:29], v[32:33], 0.5, v[26:27] op_sel_hi:[1,0,1] neg_lo:[1,0,0] neg_hi:[1,0,0]
	v_pk_add_f32 v[32:33], v[6:7], v[12:13]
	s_mov_b32 s2, 0x3f5db3d7
	v_pk_fma_f32 v[32:33], v[32:33], 0.5, v[4:5] op_sel_hi:[1,0,1] neg_lo:[1,0,0] neg_hi:[1,0,0]
	v_pk_add_f32 v[4:5], v[6:7], v[12:13] neg_lo:[0,1] neg_hi:[0,1]
	v_pk_add_f32 v[0:1], v[0:1], v[12:13]
	v_pk_mul_f32 v[6:7], v[4:5], s[2:3] op_sel_hi:[1,0]
	v_mad_u32_u24 v23, v24, 24, 0
	v_pk_add_f32 v[4:5], v[32:33], v[6:7] op_sel:[0,1] op_sel_hi:[1,0] neg_lo:[0,1] neg_hi:[0,1]
	v_pk_add_f32 v[6:7], v[32:33], v[6:7] op_sel:[0,1] op_sel_hi:[1,0]
	v_mov_b32_e32 v12, v4
	v_mov_b32_e32 v13, v7
	ds_write2_b64 v23, v[0:1], v[12:13] offset1:1
	v_mov_b32_e32 v12, v6
	v_mov_b32_e32 v13, v5
	v_pk_add_f32 v[32:33], v[10:11], v[30:31]
	ds_write_b64 v23, v[12:13] offset:16
	v_pk_add_f32 v[12:13], v[8:9], v[10:11]
	v_pk_fma_f32 v[32:33], v[32:33], 0.5, v[8:9] op_sel_hi:[1,0,1] neg_lo:[1,0,0] neg_hi:[1,0,0]
	v_pk_add_f32 v[8:9], v[10:11], v[30:31] neg_lo:[0,1] neg_hi:[0,1]
	v_add_u32_e32 v25, 0xaf8, v23
	v_pk_mul_f32 v[10:11], v[8:9], s[2:3] op_sel_hi:[1,0]
	v_pk_add_f32 v[12:13], v[12:13], v[30:31]
	v_pk_add_f32 v[8:9], v[32:33], v[10:11] op_sel:[0,1] op_sel_hi:[1,0] neg_lo:[0,1] neg_hi:[0,1]
	v_pk_add_f32 v[10:11], v[32:33], v[10:11] op_sel:[0,1] op_sel_hi:[1,0]
	v_mov_b32_e32 v30, v8
	v_mov_b32_e32 v31, v11
	ds_write2_b64 v25, v[12:13], v[30:31] offset1:1
	v_mov_b32_e32 v30, v10
	v_mov_b32_e32 v31, v9
	ds_write_b64 v23, v[30:31] offset:2824
	v_pk_add_f32 v[30:31], v[14:15], v[16:17]
	v_pk_add_f32 v[32:33], v[18:19], v[14:15]
	v_pk_add_f32 v[14:15], v[14:15], v[18:19] neg_lo:[0,1] neg_hi:[0,1]
	v_pk_add_f32 v[30:31], v[18:19], v[30:31]
	v_pk_fma_f32 v[16:17], v[32:33], 0.5, v[16:17] op_sel_hi:[1,0,1] neg_lo:[1,0,0] neg_hi:[1,0,0]
	v_pk_mul_f32 v[18:19], v[14:15], s[2:3] op_sel_hi:[1,0]
	v_pk_fma_f32 v[26:27], v[34:35], s[2:3], v[28:29] op_sel:[0,0,1] op_sel_hi:[1,0,0]
	v_pk_add_f32 v[14:15], v[16:17], v[18:19] op_sel:[0,1] op_sel_hi:[1,0] neg_lo:[0,1] neg_hi:[0,1]
	v_pk_add_f32 v[16:17], v[16:17], v[18:19] op_sel:[0,1] op_sel_hi:[1,0]
	v_pk_fma_f32 v[28:29], v[34:35], s[2:3], v[28:29] op_sel:[0,0,1] op_sel_hi:[1,0,0] neg_lo:[1,0,0] neg_hi:[1,0,0]
	v_add_u32_e32 v25, 0x15f0, v23
	v_mov_b32_e32 v18, v14
	v_mov_b32_e32 v19, v17
	s_movk_i32 s2, 0x4e
	ds_write2_b64 v25, v[30:31], v[18:19] offset1:1
	v_mov_b32_e32 v18, v16
	v_mov_b32_e32 v19, v15
	v_cmp_gt_u32_e32 vcc, s2, v24
	ds_write_b64 v23, v[18:19] offset:5632
	s_and_saveexec_b64 s[2:3], vcc
	s_cbranch_execz .LBB0_15
; %bb.14:
	v_add_u32_e32 v25, 0x20e8, v23
	v_mov_b32_e32 v18, v29
	v_mov_b32_e32 v19, v26
	ds_write2_b64 v25, v[2:3], v[18:19] offset1:1
	v_mov_b32_e32 v18, v27
	v_mov_b32_e32 v19, v28
	ds_write_b64 v23, v[18:19] offset:8440
.LBB0_15:
	s_or_b64 exec, exec, s[2:3]
	s_movk_i32 s2, 0x63
	s_movk_i32 s4, 0x62
	v_cmp_gt_u32_e64 s[2:3], s2, v24
	v_cmp_lt_u32_e64 s[4:5], s4, v24
	s_waitcnt lgkmcnt(0)
	s_barrier
	s_waitcnt lgkmcnt(0)
                                        ; implicit-def: $vgpr32
                                        ; implicit-def: $vgpr34
                                        ; implicit-def: $vgpr36
                                        ; implicit-def: $vgpr38
                                        ; implicit-def: $vgpr40
	s_and_saveexec_b64 s[6:7], s[4:5]
	s_xor_b64 s[4:5], exec, s[6:7]
; %bb.16:
	v_mov_b32_e32 v32, v11
	v_mov_b32_e32 v34, v9
	;; [unrolled: 1-line block ×5, first 2 shown]
                                        ; implicit-def: $vgpr23
; %bb.17:
	s_or_saveexec_b64 s[4:5], s[4:5]
                                        ; implicit-def: $vgpr56
                                        ; implicit-def: $vgpr18
	s_xor_b64 exec, exec, s[4:5]
	s_cbranch_execz .LBB0_19
; %bb.18:
	v_lshlrev_b32_e32 v0, 4, v24
	v_sub_u32_e32 v23, v23, v0
	v_add_u32_e32 v4, 0x400, v23
	v_add_u32_e32 v8, 0x800, v23
	;; [unrolled: 1-line block ×5, first 2 shown]
	ds_read2_b64 v[0:3], v23 offset1:99
	ds_read2_b64 v[4:7], v4 offset0:70 offset1:169
	ds_read2_b64 v[8:11], v8 offset0:140 offset1:239
	;; [unrolled: 1-line block ×5, first 2 shown]
	ds_read_b64 v[56:57], v23 offset:9504
	s_waitcnt lgkmcnt(3)
	v_mov_b32_e32 v26, v31
	v_mov_b32_e32 v27, v32
	;; [unrolled: 1-line block ×4, first 2 shown]
	s_waitcnt lgkmcnt(1)
	v_mov_b32_e32 v40, v17
	v_mov_b32_e32 v38, v15
	;; [unrolled: 1-line block ×11, first 2 shown]
	v_mov_b64_e32 v[2:3], v[18:19]
	s_waitcnt lgkmcnt(0)
	v_mov_b32_e32 v18, v57
.LBB0_19:
	s_or_b64 exec, exec, s[4:5]
	s_movk_i32 s4, 0xab
	v_mul_lo_u16_sdwa v9, v24, s4 dst_sel:DWORD dst_unused:UNUSED_PAD src0_sel:BYTE_0 src1_sel:DWORD
	v_lshrrev_b16_e32 v23, 9, v9
	v_mul_lo_u16_e32 v9, 3, v23
	v_sub_u16_e32 v25, v24, v9
	v_mov_b32_e32 v9, 12
	v_mul_u32_u24_sdwa v9, v25, v9 dst_sel:DWORD dst_unused:UNUSED_PAD src0_sel:BYTE_0 src1_sel:DWORD
	v_lshlrev_b32_e32 v9, 3, v9
	global_load_dwordx4 v[46:49], v9, s[8:9] offset:48
	global_load_dwordx4 v[50:53], v9, s[8:9] offset:64
	;; [unrolled: 1-line block ×3, first 2 shown]
	global_load_dwordx4 v[64:67], v9, s[8:9]
	global_load_dwordx4 v[76:79], v9, s[8:9] offset:32
	global_load_dwordx4 v[86:89], v9, s[8:9] offset:16
	s_mov_b32 s24, 0xbf52af12
	s_mov_b32 s25, 0x3f116cb1
	;; [unrolled: 1-line block ×40, first 2 shown]
	s_barrier
	s_waitcnt vmcnt(5)
	v_pk_mul_f32 v[54:55], v[38:39], v[46:47] op_sel_hi:[0,1]
	v_pk_mul_f32 v[62:63], v[40:41], v[48:49] op_sel_hi:[0,1]
	s_waitcnt vmcnt(4)
	v_pk_mul_f32 v[68:69], v[2:3], v[50:51] op_sel:[1,0]
	v_pk_mul_f32 v[74:75], v[26:27], v[52:53] op_sel_hi:[0,1]
	s_waitcnt vmcnt(3)
	v_pk_mul_f32 v[18:19], v[18:19], v[60:61] op_sel_hi:[0,1]
	s_waitcnt vmcnt(2)
	v_mul_f32_e32 v11, v4, v65
	v_mul_f32_e32 v15, v6, v67
	s_waitcnt vmcnt(0)
	v_mul_f32_e32 v17, v12, v87
	v_pk_mul_f32 v[80:81], v[28:29], v[58:59] op_sel_hi:[0,1]
	v_mul_f32_e32 v42, v7, v65
	v_pk_mul_f32 v[36:37], v[36:37], v[78:79] op_sel_hi:[0,1]
	v_pk_mul_f32 v[34:35], v[34:35], v[76:77] op_sel_hi:[0,1]
	v_pk_fma_f32 v[44:45], v[14:15], v[46:47], v[54:55] op_sel:[0,0,1] op_sel_hi:[0,1,0]
	v_pk_fma_f32 v[72:73], v[14:15], v[46:47], v[54:55] op_sel:[0,0,1] op_sel_hi:[0,1,0] neg_lo:[1,0,0] neg_hi:[1,0,0]
	v_pk_fma_f32 v[46:47], v[16:17], v[48:49], v[62:63] op_sel:[0,0,1] op_sel_hi:[0,1,0]
	v_pk_fma_f32 v[70:71], v[16:17], v[48:49], v[62:63] op_sel:[0,0,1] op_sel_hi:[0,1,0] neg_lo:[1,0,0] neg_hi:[1,0,0]
	;; [unrolled: 2-line block ×4, first 2 shown]
	v_pk_fma_f32 v[82:83], v[56:57], v[60:61], v[18:19] op_sel:[0,0,1] op_sel_hi:[0,1,0] neg_lo:[1,0,0] neg_hi:[1,0,0]
	v_fma_f32 v74, v7, v64, -v11
	v_mul_f32_e32 v38, v5, v67
	v_mul_f32_e32 v40, v13, v87
	v_pk_fma_f32 v[52:53], v[26:27], v[58:59], v[80:81] op_sel:[1,0,1] op_sel_hi:[1,1,0]
	v_pk_fma_f32 v[80:81], v[26:27], v[58:59], v[80:81] op_sel:[1,0,1] op_sel_hi:[1,1,0] neg_lo:[1,0,0] neg_hi:[1,0,0]
	v_pk_fma_f32 v[54:55], v[56:57], v[60:61], v[18:19] op_sel:[0,0,1] op_sel_hi:[0,1,0]
	v_fmac_f32_e32 v42, v4, v64
	v_fma_f32 v60, v5, v66, -v15
	v_pk_fma_f32 v[56:57], v[30:31], v[78:79], v[36:37] op_sel:[0,0,1] op_sel_hi:[0,1,0]
	v_pk_fma_f32 v[84:85], v[30:31], v[78:79], v[36:37] op_sel:[0,0,1] op_sel_hi:[0,1,0] neg_lo:[1,0,0] neg_hi:[1,0,0]
	v_pk_fma_f32 v[58:59], v[10:11], v[76:77], v[34:35] op_sel:[0,0,1] op_sel_hi:[0,1,0]
	v_pk_fma_f32 v[78:79], v[10:11], v[76:77], v[34:35] op_sel:[0,0,1] op_sel_hi:[0,1,0] neg_lo:[1,0,0] neg_hi:[1,0,0]
	v_pk_add_f32 v[98:99], v[74:75], v[82:83] op_sel_hi:[0,1]
	v_pk_add_f32 v[34:35], v[74:75], v[82:83] op_sel:[0,1] neg_lo:[0,1] neg_hi:[0,1]
	v_fmac_f32_e32 v38, v6, v66
	v_fmac_f32_e32 v40, v12, v86
	v_pk_add_f32 v[96:97], v[42:43], v[54:55] neg_lo:[0,1] neg_hi:[0,1]
	v_pk_add_f32 v[10:11], v[42:43], v[54:55]
	v_pk_add_f32 v[102:103], v[60:61], v[80:81] op_sel_hi:[0,1]
	v_pk_add_f32 v[36:37], v[60:61], v[80:81] op_sel:[0,1] neg_lo:[0,1] neg_hi:[0,1]
	v_mov_b32_e32 v35, v99
	v_fma_f32 v66, v13, v86, -v17
	v_pk_add_f32 v[2:3], v[40:41], v[50:51]
	v_pk_add_f32 v[16:17], v[40:41], v[50:51] neg_lo:[0,1] neg_hi:[0,1]
	v_pk_add_f32 v[100:101], v[38:39], v[52:53] neg_lo:[0,1] neg_hi:[0,1]
	v_pk_add_f32 v[28:29], v[38:39], v[52:53]
	v_mov_b32_e32 v11, v96
	v_mov_b32_e32 v37, v103
	v_pk_mul_f32 v[104:105], v[34:35], s[24:25]
	v_pk_mul_f32 v[8:9], v[8:9], v[88:89] op_sel_hi:[0,1]
	v_mov_b32_e32 v90, v89
	v_mov_b32_e32 v91, v88
	v_pk_add_f32 v[12:13], v[66:67], v[62:63] op_sel:[0,1] neg_lo:[0,1] neg_hi:[0,1]
	v_pk_add_f32 v[18:19], v[66:67], v[62:63] op_sel_hi:[0,1]
	v_mov_b32_e32 v3, v16
	v_mov_b32_e32 v29, v100
	v_pk_fma_f32 v[102:103], v[10:11], s[4:5], v[104:105]
	v_pk_fma_f32 v[16:17], v[10:11], s[4:5], v[104:105] neg_lo:[0,0,1] neg_hi:[0,0,1]
	v_pk_mul_f32 v[112:113], v[36:37], s[16:17]
	v_pk_fma_f32 v[76:77], v[32:33], v[90:91], v[8:9] op_sel_hi:[0,1,1] neg_lo:[0,0,1] neg_hi:[0,0,1]
	v_pk_add_f32 v[6:7], v[58:59], v[46:47]
	v_pk_add_f32 v[88:89], v[58:59], v[46:47] neg_lo:[0,1] neg_hi:[0,1]
	v_mov_b32_e32 v13, v19
	v_mov_b32_e32 v17, v103
	v_pk_fma_f32 v[110:111], v[28:29], s[6:7], v[112:113]
	v_pk_fma_f32 v[18:19], v[28:29], s[6:7], v[112:113] neg_lo:[0,0,1] neg_hi:[0,0,1]
	v_pk_fma_f32 v[64:65], v[32:33], v[90:91], v[8:9] op_sel_hi:[0,1,1]
	v_pk_add_f32 v[86:87], v[76:77], v[68:69] neg_lo:[0,1] neg_hi:[0,1]
	v_pk_add_f32 v[14:15], v[76:77], v[68:69]
	v_pk_add_f32 v[8:9], v[56:57], v[44:45]
	v_pk_add_f32 v[92:93], v[56:57], v[44:45] neg_lo:[0,1] neg_hi:[0,1]
	v_mov_b32_e32 v7, v88
	v_pk_add_f32 v[16:17], v[0:1], v[16:17]
	v_mov_b32_e32 v19, v111
	v_pk_mul_f32 v[88:89], v[34:35], s[16:17]
	v_pk_add_f32 v[4:5], v[64:65], v[48:49]
	v_pk_add_f32 v[26:27], v[64:65], v[48:49] neg_lo:[0,1] neg_hi:[0,1]
	v_pk_add_f32 v[90:91], v[78:79], v[70:71] neg_lo:[0,1] neg_hi:[0,1]
	v_pk_add_f32 v[30:31], v[78:79], v[70:71]
	v_mov_b32_e32 v14, v87
	v_mov_b32_e32 v9, v92
	v_pk_add_f32 v[16:17], v[18:19], v[16:17]
	v_pk_fma_f32 v[18:19], v[10:11], s[6:7], v[88:89] neg_lo:[0,0,1] neg_hi:[0,0,1]
	v_pk_fma_f32 v[86:87], v[10:11], s[6:7], v[88:89]
	v_pk_mul_f32 v[92:93], v[36:37], s[22:23]
	v_mov_b32_e32 v5, v26
	v_mov_b32_e32 v30, v91
	v_mov_b32_e32 v19, v87
	v_pk_fma_f32 v[26:27], v[28:29], s[42:43], v[92:93] neg_lo:[0,0,1] neg_hi:[0,0,1]
	v_pk_fma_f32 v[90:91], v[28:29], s[42:43], v[92:93]
	v_pk_add_f32 v[18:19], v[0:1], v[18:19]
	v_mov_b32_e32 v27, v91
	v_pk_mul_f32 v[116:117], v[12:13], s[26:27]
	v_pk_add_f32 v[18:19], v[26:27], v[18:19]
	v_pk_fma_f32 v[114:115], v[2:3], s[10:11], v[116:117]
	v_pk_fma_f32 v[26:27], v[2:3], s[10:11], v[116:117] neg_lo:[0,0,1] neg_hi:[0,0,1]
	v_pk_add_f32 v[94:95], v[84:85], v[72:73] neg_lo:[0,1] neg_hi:[0,1]
	v_pk_add_f32 v[32:33], v[84:85], v[72:73]
	v_mov_b32_e32 v27, v115
	v_pk_mul_f32 v[96:97], v[12:13], s[30:31]
	v_mov_b32_e32 v32, v95
	v_pk_add_f32 v[16:17], v[26:27], v[16:17]
	v_pk_fma_f32 v[26:27], v[2:3], s[14:15], v[96:97] neg_lo:[0,0,1] neg_hi:[0,0,1]
	v_pk_fma_f32 v[94:95], v[2:3], s[14:15], v[96:97]
	v_pk_mul_f32 v[120:121], v[14:15], s[22:23]
	v_mov_b32_e32 v27, v95
	v_pk_add_f32 v[18:19], v[26:27], v[18:19]
	v_pk_fma_f32 v[118:119], v[4:5], s[42:43], v[120:121]
	v_pk_fma_f32 v[26:27], v[4:5], s[42:43], v[120:121] neg_lo:[0,0,1] neg_hi:[0,0,1]
	v_pk_mul_f32 v[100:101], v[14:15], s[46:47]
	v_mov_b32_e32 v27, v119
	v_pk_add_f32 v[16:17], v[26:27], v[16:17]
	v_pk_fma_f32 v[26:27], v[4:5], s[12:13], v[100:101] neg_lo:[0,0,1] neg_hi:[0,0,1]
	v_pk_fma_f32 v[98:99], v[4:5], s[12:13], v[100:101]
	v_pk_mul_f32 v[124:125], v[30:31], s[28:29]
	v_mov_b32_e32 v27, v99
	v_pk_add_f32 v[18:19], v[26:27], v[18:19]
	v_pk_fma_f32 v[122:123], v[6:7], s[20:21], v[124:125]
	v_pk_fma_f32 v[26:27], v[6:7], s[20:21], v[124:125] neg_lo:[0,0,1] neg_hi:[0,0,1]
	;; [unrolled: 10-line block ×3, first 2 shown]
	v_pk_mul_f32 v[138:139], v[34:35], s[46:47]
	v_mov_b32_e32 v27, v127
	v_pk_add_f32 v[16:17], v[26:27], v[16:17]
	v_pk_fma_f32 v[26:27], v[10:11], s[12:13], v[138:139] neg_lo:[0,0,1] neg_hi:[0,0,1]
	v_pk_fma_f32 v[130:131], v[10:11], s[12:13], v[138:139]
	v_pk_mul_f32 v[140:141], v[36:37], s[26:27]
	v_mov_b32_e32 v27, v131
	v_pk_fma_f32 v[134:135], v[28:29], s[10:11], v[140:141] neg_lo:[0,0,1] neg_hi:[0,0,1]
	v_pk_fma_f32 v[132:133], v[28:29], s[10:11], v[140:141]
	v_pk_add_f32 v[26:27], v[0:1], v[26:27]
	v_mov_b32_e32 v135, v133
	v_pk_mul_f32 v[144:145], v[12:13], s[34:35]
	v_pk_add_f32 v[26:27], v[134:135], v[26:27]
	v_pk_fma_f32 v[134:135], v[2:3], s[48:49], v[144:145] neg_lo:[0,0,1] neg_hi:[0,0,1]
	v_pk_fma_f32 v[142:143], v[2:3], s[48:49], v[144:145]
	v_pk_mul_f32 v[148:149], v[14:15], s[30:31]
	v_mov_b32_e32 v135, v143
	v_pk_add_f32 v[26:27], v[134:135], v[26:27]
	v_pk_fma_f32 v[134:135], v[4:5], s[14:15], v[148:149] neg_lo:[0,0,1] neg_hi:[0,0,1]
	v_pk_fma_f32 v[146:147], v[4:5], s[14:15], v[148:149]
	v_pk_mul_f32 v[152:153], v[30:31], s[24:25]
	v_mov_b32_e32 v135, v147
	v_pk_add_f32 v[26:27], v[134:135], v[26:27]
	v_pk_fma_f32 v[134:135], v[6:7], s[4:5], v[152:153] neg_lo:[0,0,1] neg_hi:[0,0,1]
	v_pk_fma_f32 v[150:151], v[6:7], s[4:5], v[152:153]
	s_mov_b32 s22, 0xbf29c268
	v_mov_b32_e32 v135, v151
	s_mov_b32 s34, s23
	s_mov_b32 s35, s22
	v_pk_mul_f32 v[156:157], v[32:33], s[22:23]
	v_pk_add_f32 v[26:27], v[134:135], v[26:27]
	v_pk_fma_f32 v[134:135], v[8:9], s[34:35], v[156:157] neg_lo:[0,0,1] neg_hi:[0,0,1]
	v_pk_fma_f32 v[154:155], v[8:9], s[34:35], v[156:157]
	v_pk_mul_f32 v[136:137], v[32:33], s[44:45]
	v_mov_b32_e32 v135, v155
	v_pk_add_f32 v[26:27], v[134:135], v[26:27]
	v_pk_fma_f32 v[158:159], v[8:9], s[40:41], v[136:137] neg_lo:[0,0,1] neg_hi:[0,0,1]
	v_pk_fma_f32 v[134:135], v[8:9], s[40:41], v[136:137]
	s_nop 0
	v_mov_b32_e32 v159, v135
	v_pk_add_f32 v[18:19], v[158:159], v[18:19]
	s_and_saveexec_b64 s[38:39], s[2:3]
	s_cbranch_execz .LBB0_21
; %bb.20:
	v_add_f32_e32 v43, v1, v74
	v_add_f32_e32 v42, v0, v42
	v_mov_b32_e32 v39, v60
	v_pk_add_f32 v[38:39], v[42:43], v[38:39]
	v_mov_b32_e32 v41, v66
	v_mov_b32_e32 v65, v77
	v_pk_add_f32 v[38:39], v[38:39], v[40:41]
	v_mov_b32_e32 v59, v79
	v_pk_add_f32 v[38:39], v[38:39], v[64:65]
	;; [unrolled: 2-line block ×7, first 2 shown]
	s_mov_b32 s3, 0xbeedf032
	v_mov_b32_e32 v53, v81
	v_pk_add_f32 v[38:39], v[38:39], v[50:51]
	s_mov_b32 s50, s3
	s_mov_b32 s51, s31
	v_mov_b32_e32 v55, v83
	v_pk_add_f32 v[38:39], v[38:39], v[52:53]
	s_mov_b32 s2, s31
	v_pk_mul_f32 v[40:41], v[34:35], s[50:51]
	v_pk_add_f32 v[44:45], v[38:39], v[54:55]
	v_pk_fma_f32 v[38:39], v[10:11], s[2:3], v[40:41]
	v_pk_fma_f32 v[42:43], v[10:11], s[2:3], v[40:41] neg_lo:[1,0,0] neg_hi:[1,0,0]
	v_pk_mul_f32 v[48:49], v[36:37], s[24:25]
	v_mov_b32_e32 v42, v38
	v_pk_add_f32 v[46:47], v[0:1], v[42:43]
	v_pk_fma_f32 v[42:43], v[28:29], s[4:5], v[48:49]
	v_pk_fma_f32 v[50:51], v[28:29], s[4:5], v[48:49] neg_lo:[1,0,0] neg_hi:[1,0,0]
	v_mov_b32_e32 v38, 3
	v_mov_b32_e32 v50, v42
	v_pk_add_f32 v[46:47], v[50:51], v[46:47]
	v_pk_mul_f32 v[50:51], v[12:13], s[46:47]
	v_lshlrev_b32_sdwa v25, v38, v25 dst_sel:DWORD dst_unused:UNUSED_PAD src0_sel:DWORD src1_sel:BYTE_0
	v_pk_fma_f32 v[52:53], v[2:3], s[12:13], v[50:51]
	v_pk_fma_f32 v[54:55], v[2:3], s[12:13], v[50:51] neg_lo:[1,0,0] neg_hi:[1,0,0]
	v_mul_u32_u24_e32 v23, 0x138, v23
	v_mov_b32_e32 v54, v52
	v_pk_add_f32 v[46:47], v[54:55], v[46:47]
	v_pk_mul_f32 v[54:55], v[14:15], s[16:17]
	v_add3_u32 v23, 0, v23, v25
	v_pk_fma_f32 v[56:57], v[4:5], s[6:7], v[54:55]
	v_pk_fma_f32 v[58:59], v[4:5], s[6:7], v[54:55] neg_lo:[1,0,0] neg_hi:[1,0,0]
	v_pk_mul_f32 v[76:77], v[10:11], s[12:13]
	v_mov_b32_e32 v58, v56
	v_pk_add_f32 v[46:47], v[58:59], v[46:47]
	v_pk_mul_f32 v[58:59], v[30:31], s[22:23]
	v_pk_mul_f32 v[72:73], v[8:9], s[14:15]
	v_pk_fma_f32 v[60:61], v[6:7], s[34:35], v[58:59]
	v_pk_fma_f32 v[62:63], v[6:7], s[34:35], v[58:59] neg_lo:[1,0,0] neg_hi:[1,0,0]
	v_pk_add_f32 v[76:77], v[138:139], v[76:77] neg_lo:[0,1] neg_hi:[0,1]
	v_mov_b32_e32 v62, v60
	v_pk_add_f32 v[46:47], v[62:63], v[46:47]
	v_pk_mul_f32 v[62:63], v[32:33], s[26:27]
	v_pk_add_f32 v[72:73], v[128:129], v[72:73] neg_lo:[0,1] neg_hi:[0,1]
	v_pk_fma_f32 v[64:65], v[8:9], s[10:11], v[62:63]
	v_pk_fma_f32 v[66:67], v[8:9], s[10:11], v[62:63] neg_lo:[1,0,0] neg_hi:[1,0,0]
	v_mov_b32_e32 v131, v77
	v_mov_b32_e32 v66, v64
	v_pk_add_f32 v[46:47], v[66:67], v[46:47]
	ds_write2_b64 v23, v[44:45], v[46:47] offset1:3
	v_pk_mul_f32 v[44:45], v[10:11], s[4:5]
	v_pk_mul_f32 v[46:47], v[2:3], s[10:11]
	v_pk_add_f32 v[44:45], v[104:105], v[44:45] neg_lo:[0,1] neg_hi:[0,1]
	v_pk_mul_f32 v[76:77], v[28:29], s[10:11]
	v_mov_b32_e32 v103, v45
	v_pk_mul_f32 v[44:45], v[28:29], s[6:7]
	v_pk_add_f32 v[46:47], v[116:117], v[46:47] neg_lo:[0,1] neg_hi:[0,1]
	v_pk_add_f32 v[44:45], v[112:113], v[44:45] neg_lo:[0,1] neg_hi:[0,1]
	v_mov_b32_e32 v127, v73
	v_pk_mul_f32 v[72:73], v[2:3], s[48:49]
	v_pk_add_f32 v[76:77], v[140:141], v[76:77] neg_lo:[0,1] neg_hi:[0,1]
	v_mov_b32_e32 v111, v45
	v_pk_add_f32 v[44:45], v[0:1], v[102:103]
	v_mov_b32_e32 v115, v47
	v_pk_mul_f32 v[46:47], v[4:5], s[42:43]
	v_pk_mul_f32 v[78:79], v[4:5], s[14:15]
	v_mov_b32_e32 v133, v77
	v_pk_add_f32 v[82:83], v[0:1], v[130:131]
	v_pk_add_f32 v[72:73], v[144:145], v[72:73] neg_lo:[0,1] neg_hi:[0,1]
	v_pk_add_f32 v[44:45], v[110:111], v[44:45]
	v_pk_add_f32 v[46:47], v[120:121], v[46:47] neg_lo:[0,1] neg_hi:[0,1]
	v_pk_mul_f32 v[68:69], v[6:7], s[20:21]
	v_pk_mul_f32 v[80:81], v[6:7], s[4:5]
	v_pk_add_f32 v[82:83], v[132:133], v[82:83]
	v_mov_b32_e32 v143, v73
	v_pk_add_f32 v[78:79], v[148:149], v[78:79] neg_lo:[0,1] neg_hi:[0,1]
	v_pk_add_f32 v[44:45], v[114:115], v[44:45]
	v_mov_b32_e32 v119, v47
	v_pk_mul_f32 v[46:47], v[4:5], s[12:13]
	v_pk_add_f32 v[68:69], v[124:125], v[68:69] neg_lo:[0,1] neg_hi:[0,1]
	v_pk_mul_f32 v[76:77], v[8:9], s[34:35]
	v_pk_add_f32 v[72:73], v[142:143], v[82:83]
	v_mov_b32_e32 v147, v79
	v_pk_add_f32 v[78:79], v[152:153], v[80:81] neg_lo:[0,1] neg_hi:[0,1]
	v_pk_add_f32 v[44:45], v[118:119], v[44:45]
	v_pk_mul_f32 v[70:71], v[6:7], s[18:19]
	v_mov_b32_e32 v123, v69
	v_pk_add_f32 v[72:73], v[146:147], v[72:73]
	v_mov_b32_e32 v151, v79
	v_pk_add_f32 v[76:77], v[156:157], v[76:77] neg_lo:[0,1] neg_hi:[0,1]
	v_pk_add_f32 v[46:47], v[100:101], v[46:47] neg_lo:[0,1] neg_hi:[0,1]
	v_pk_add_f32 v[44:45], v[122:123], v[44:45]
	v_pk_mul_f32 v[84:85], v[8:9], s[40:41]
	v_pk_add_f32 v[72:73], v[150:151], v[72:73]
	v_mov_b32_e32 v155, v77
	v_mov_b32_e32 v99, v47
	v_pk_add_f32 v[46:47], v[108:109], v[70:71] neg_lo:[0,1] neg_hi:[0,1]
	v_pk_mul_f32 v[66:67], v[2:3], s[14:15]
	v_pk_mul_f32 v[68:69], v[10:11], s[6:7]
	;; [unrolled: 1-line block ×3, first 2 shown]
	v_pk_add_f32 v[44:45], v[126:127], v[44:45]
	v_pk_add_f32 v[72:73], v[154:155], v[72:73]
	v_mov_b32_e32 v107, v47
	v_pk_add_f32 v[46:47], v[136:137], v[84:85] neg_lo:[0,1] neg_hi:[0,1]
	ds_write2_b64 v23, v[44:45], v[72:73] offset0:6 offset1:9
	v_pk_add_f32 v[44:45], v[88:89], v[68:69] neg_lo:[0,1] neg_hi:[0,1]
	v_pk_add_f32 v[68:69], v[92:93], v[74:75] neg_lo:[0,1] neg_hi:[0,1]
	;; [unrolled: 1-line block ×3, first 2 shown]
	v_mov_b32_e32 v135, v47
	v_pk_mul_f32 v[46:47], v[34:35], s[22:23]
	v_mov_b32_e32 v91, v69
	v_mov_b32_e32 v95, v67
	v_pk_fma_f32 v[66:67], v[10:11], s[34:35], v[46:47]
	v_pk_fma_f32 v[68:69], v[10:11], s[34:35], v[46:47] neg_lo:[1,0,0] neg_hi:[1,0,0]
	v_pk_mul_f32 v[70:71], v[36:37], s[28:29]
	v_mov_b32_e32 v68, v66
	v_pk_fma_f32 v[72:73], v[28:29], s[20:21], v[70:71]
	v_pk_fma_f32 v[74:75], v[28:29], s[20:21], v[70:71] neg_lo:[1,0,0] neg_hi:[1,0,0]
	v_pk_add_f32 v[68:69], v[0:1], v[68:69]
	v_mov_b32_e32 v74, v72
	v_pk_add_f32 v[68:69], v[74:75], v[68:69]
	v_pk_mul_f32 v[74:75], v[12:13], s[24:25]
	v_mov_b32_e32 v87, v45
	v_pk_fma_f32 v[76:77], v[2:3], s[4:5], v[74:75]
	v_pk_fma_f32 v[78:79], v[2:3], s[4:5], v[74:75] neg_lo:[1,0,0] neg_hi:[1,0,0]
	v_pk_add_f32 v[44:45], v[0:1], v[86:87]
	v_mov_b32_e32 v78, v76
	v_pk_add_f32 v[68:69], v[78:79], v[68:69]
	v_pk_mul_f32 v[78:79], v[14:15], s[36:37]
	v_pk_add_f32 v[44:45], v[90:91], v[44:45]
	v_pk_fma_f32 v[80:81], v[4:5], s[18:19], v[78:79]
	v_pk_fma_f32 v[82:83], v[4:5], s[18:19], v[78:79] neg_lo:[1,0,0] neg_hi:[1,0,0]
	v_pk_add_f32 v[44:45], v[94:95], v[44:45]
	v_mov_b32_e32 v82, v80
	v_pk_add_f32 v[68:69], v[82:83], v[68:69]
	v_pk_mul_f32 v[82:83], v[30:31], s[30:31]
	v_pk_add_f32 v[44:45], v[98:99], v[44:45]
	v_pk_fma_f32 v[84:85], v[6:7], s[14:15], v[82:83]
	v_pk_fma_f32 v[86:87], v[6:7], s[14:15], v[82:83] neg_lo:[1,0,0] neg_hi:[1,0,0]
	v_pk_add_f32 v[44:45], v[106:107], v[44:45]
	v_mov_b32_e32 v86, v84
	v_pk_add_f32 v[68:69], v[86:87], v[68:69]
	v_pk_mul_f32 v[86:87], v[32:33], s[16:17]
	v_pk_add_f32 v[44:45], v[134:135], v[44:45]
	v_pk_fma_f32 v[88:89], v[8:9], s[6:7], v[86:87]
	v_pk_fma_f32 v[90:91], v[8:9], s[6:7], v[86:87] neg_lo:[1,0,0] neg_hi:[1,0,0]
	v_pk_mul_f32 v[34:35], v[34:35], s[26:27]
	v_mov_b32_e32 v90, v88
	v_pk_add_f32 v[68:69], v[90:91], v[68:69]
	ds_write2_b64 v23, v[44:45], v[68:69] offset0:12 offset1:15
	v_pk_fma_f32 v[44:45], v[10:11], s[10:11], v[34:35]
	v_pk_fma_f32 v[68:69], v[10:11], s[10:11], v[34:35] neg_lo:[1,0,0] neg_hi:[1,0,0]
	v_pk_mul_f32 v[36:37], v[36:37], s[30:31]
	v_mov_b32_e32 v68, v44
	v_pk_fma_f32 v[90:91], v[28:29], s[14:15], v[36:37]
	v_pk_fma_f32 v[92:93], v[28:29], s[14:15], v[36:37] neg_lo:[1,0,0] neg_hi:[1,0,0]
	v_pk_add_f32 v[68:69], v[0:1], v[68:69]
	v_mov_b32_e32 v92, v90
	v_pk_mul_f32 v[12:13], v[12:13], s[22:23]
	v_pk_fma_f32 v[34:35], v[10:11], s[10:11], v[34:35] neg_lo:[0,0,1] neg_hi:[0,0,1]
	v_pk_add_f32 v[68:69], v[92:93], v[68:69]
	v_pk_fma_f32 v[92:93], v[2:3], s[34:35], v[12:13]
	v_pk_fma_f32 v[94:95], v[2:3], s[34:35], v[12:13] neg_lo:[1,0,0] neg_hi:[1,0,0]
	v_mov_b32_e32 v35, v45
	v_pk_fma_f32 v[36:37], v[28:29], s[14:15], v[36:37] neg_lo:[0,0,1] neg_hi:[0,0,1]
	v_mov_b32_e32 v94, v92
	v_pk_mul_f32 v[14:15], v[14:15], s[44:45]
	v_pk_add_f32 v[34:35], v[0:1], v[34:35]
	v_mov_b32_e32 v37, v91
	v_pk_fma_f32 v[12:13], v[2:3], s[34:35], v[12:13] neg_lo:[0,0,1] neg_hi:[0,0,1]
	v_pk_add_f32 v[68:69], v[94:95], v[68:69]
	v_pk_fma_f32 v[94:95], v[4:5], s[40:41], v[14:15]
	v_pk_fma_f32 v[96:97], v[4:5], s[40:41], v[14:15] neg_lo:[1,0,0] neg_hi:[1,0,0]
	v_pk_add_f32 v[34:35], v[36:37], v[34:35]
	v_mov_b32_e32 v13, v93
	v_pk_fma_f32 v[14:15], v[4:5], s[40:41], v[14:15] neg_lo:[0,0,1] neg_hi:[0,0,1]
	v_mov_b32_e32 v96, v94
	v_pk_mul_f32 v[30:31], v[30:31], s[16:17]
	v_pk_add_f32 v[12:13], v[12:13], v[34:35]
	v_mov_b32_e32 v15, v95
	v_pk_add_f32 v[68:69], v[96:97], v[68:69]
	v_pk_fma_f32 v[96:97], v[6:7], s[6:7], v[30:31]
	v_pk_fma_f32 v[98:99], v[6:7], s[6:7], v[30:31] neg_lo:[1,0,0] neg_hi:[1,0,0]
	v_pk_add_f32 v[12:13], v[14:15], v[12:13]
	v_pk_fma_f32 v[14:15], v[6:7], s[6:7], v[30:31] neg_lo:[0,0,1] neg_hi:[0,0,1]
	v_mov_b32_e32 v98, v96
	v_pk_mul_f32 v[32:33], v[32:33], s[28:29]
	v_mov_b32_e32 v15, v97
	v_pk_add_f32 v[68:69], v[98:99], v[68:69]
	v_pk_fma_f32 v[98:99], v[8:9], s[20:21], v[32:33]
	v_pk_fma_f32 v[100:101], v[8:9], s[20:21], v[32:33] neg_lo:[1,0,0] neg_hi:[1,0,0]
	v_pk_add_f32 v[12:13], v[14:15], v[12:13]
	v_pk_fma_f32 v[14:15], v[8:9], s[20:21], v[32:33] neg_lo:[0,0,1] neg_hi:[0,0,1]
	v_mov_b32_e32 v100, v98
	v_mov_b32_e32 v15, v99
	v_pk_add_f32 v[68:69], v[100:101], v[68:69]
	v_pk_add_f32 v[12:13], v[14:15], v[12:13]
	ds_write2_b64 v23, v[68:69], v[12:13] offset0:18 offset1:21
	v_pk_fma_f32 v[12:13], v[10:11], s[34:35], v[46:47] neg_lo:[0,0,1] neg_hi:[0,0,1]
	v_pk_fma_f32 v[10:11], v[10:11], s[2:3], v[40:41] neg_lo:[0,0,1] neg_hi:[0,0,1]
	v_mov_b32_e32 v13, v67
	v_pk_fma_f32 v[14:15], v[28:29], s[20:21], v[70:71] neg_lo:[0,0,1] neg_hi:[0,0,1]
	v_mov_b32_e32 v11, v39
	v_pk_add_f32 v[12:13], v[0:1], v[12:13]
	v_mov_b32_e32 v15, v73
	v_pk_add_f32 v[0:1], v[0:1], v[10:11]
	v_pk_fma_f32 v[10:11], v[28:29], s[4:5], v[48:49] neg_lo:[0,0,1] neg_hi:[0,0,1]
	v_pk_add_f32 v[12:13], v[14:15], v[12:13]
	v_pk_fma_f32 v[14:15], v[2:3], s[4:5], v[74:75] neg_lo:[0,0,1] neg_hi:[0,0,1]
	v_mov_b32_e32 v11, v43
	v_pk_fma_f32 v[2:3], v[2:3], s[12:13], v[50:51] neg_lo:[0,0,1] neg_hi:[0,0,1]
	v_mov_b32_e32 v15, v77
	v_pk_add_f32 v[0:1], v[10:11], v[0:1]
	v_mov_b32_e32 v3, v53
	v_pk_add_f32 v[12:13], v[14:15], v[12:13]
	v_pk_fma_f32 v[14:15], v[4:5], s[18:19], v[78:79] neg_lo:[0,0,1] neg_hi:[0,0,1]
	v_pk_add_f32 v[0:1], v[2:3], v[0:1]
	v_pk_fma_f32 v[2:3], v[4:5], s[6:7], v[54:55] neg_lo:[0,0,1] neg_hi:[0,0,1]
	v_mov_b32_e32 v15, v81
	v_mov_b32_e32 v3, v57
	v_pk_add_f32 v[12:13], v[14:15], v[12:13]
	v_pk_fma_f32 v[14:15], v[6:7], s[14:15], v[82:83] neg_lo:[0,0,1] neg_hi:[0,0,1]
	v_pk_add_f32 v[0:1], v[2:3], v[0:1]
	v_pk_fma_f32 v[2:3], v[6:7], s[34:35], v[58:59] neg_lo:[0,0,1] neg_hi:[0,0,1]
	v_mov_b32_e32 v15, v85
	v_mov_b32_e32 v3, v61
	v_pk_add_f32 v[12:13], v[14:15], v[12:13]
	v_pk_fma_f32 v[14:15], v[8:9], s[6:7], v[86:87] neg_lo:[0,0,1] neg_hi:[0,0,1]
	v_pk_add_f32 v[0:1], v[2:3], v[0:1]
	v_pk_fma_f32 v[2:3], v[8:9], s[10:11], v[62:63] neg_lo:[0,0,1] neg_hi:[0,0,1]
	v_mov_b32_e32 v15, v89
	v_mov_b32_e32 v3, v65
	v_pk_add_f32 v[12:13], v[14:15], v[12:13]
	v_pk_add_f32 v[0:1], v[2:3], v[0:1]
	ds_write2_b64 v23, v[12:13], v[18:19] offset0:24 offset1:27
	ds_write2_b64 v23, v[26:27], v[16:17] offset0:30 offset1:33
	ds_write_b64 v23, v[0:1] offset:288
.LBB0_21:
	s_or_b64 exec, exec, s[38:39]
	v_lshl_add_u32 v25, v24, 3, 0
	v_add_u32_e32 v0, 0x600, v25
	v_add_u32_e32 v8, 0x1800, v25
	;; [unrolled: 1-line block ×3, first 2 shown]
	s_waitcnt lgkmcnt(0)
	s_barrier
	ds_read2_b64 v[4:7], v25 offset1:117
	ds_read2_b64 v[0:3], v0 offset0:42 offset1:237
	ds_read2_b64 v[8:11], v8 offset0:90 offset1:207
	;; [unrolled: 1-line block ×3, first 2 shown]
	ds_read_b64 v[28:29], v25 offset:8736
	s_and_saveexec_b64 s[2:3], vcc
	s_cbranch_execz .LBB0_23
; %bb.22:
	ds_read_b64 v[18:19], v25 offset:2808
	ds_read_b64 v[26:27], v25 offset:6240
	;; [unrolled: 1-line block ×3, first 2 shown]
.LBB0_23:
	s_or_b64 exec, exec, s[2:3]
	s_movk_i32 s2, 0xa5
	v_mul_lo_u16_sdwa v30, v24, s2 dst_sel:DWORD dst_unused:UNUSED_PAD src0_sel:BYTE_0 src1_sel:DWORD
	v_sub_u16_sdwa v31, v24, v30 dst_sel:DWORD dst_unused:UNUSED_PAD src0_sel:DWORD src1_sel:BYTE_1
	v_lshrrev_b16_e32 v31, 1, v31
	v_and_b32_e32 v31, 0x7f, v31
	v_add_u16_sdwa v30, v31, v30 dst_sel:DWORD dst_unused:UNUSED_PAD src0_sel:DWORD src1_sel:BYTE_1
	v_lshrrev_b16_e32 v30, 5, v30
	v_and_b32_e32 v42, 7, v30
	v_add_u16_e32 v34, 0x75, v24
	v_mul_lo_u16_e32 v30, 39, v42
	v_mul_lo_u16_sdwa v35, v34, s2 dst_sel:DWORD dst_unused:UNUSED_PAD src0_sel:BYTE_0 src1_sel:DWORD
	v_add_u32_e32 v23, 0xea, v24
	v_sub_u16_e32 v43, v24, v30
	v_sub_u16_sdwa v30, v34, v35 dst_sel:DWORD dst_unused:UNUSED_PAD src0_sel:DWORD src1_sel:BYTE_1
	s_mov_b32 s3, 0xa41b
	v_lshrrev_b16_e32 v36, 1, v30
	v_mul_u32_u24_sdwa v30, v23, s3 dst_sel:DWORD dst_unused:UNUSED_PAD src0_sel:WORD_0 src1_sel:DWORD
	v_sub_u16_sdwa v31, v23, v30 dst_sel:DWORD dst_unused:UNUSED_PAD src0_sel:DWORD src1_sel:WORD_1
	v_lshrrev_b16_e32 v31, 1, v31
	v_add_u16_sdwa v30, v31, v30 dst_sel:DWORD dst_unused:UNUSED_PAD src0_sel:DWORD src1_sel:WORD_1
	v_and_b32_e32 v36, 0x7f, v36
	v_lshrrev_b16_e32 v44, 5, v30
	v_add_u16_sdwa v35, v36, v35 dst_sel:DWORD dst_unused:UNUSED_PAD src0_sel:DWORD src1_sel:BYTE_1
	v_mul_lo_u16_e32 v30, 39, v44
	v_lshrrev_b16_e32 v35, 5, v35
	v_sub_u16_e32 v23, v23, v30
	v_and_b32_e32 v45, 7, v35
	v_lshlrev_b32_e32 v30, 4, v23
	v_mul_lo_u16_e32 v35, 39, v45
	v_mov_b32_e32 v38, 4
	global_load_dwordx4 v[30:33], v30, s[8:9] offset:288
	v_sub_u16_e32 v46, v34, v35
	v_lshlrev_b32_sdwa v34, v38, v46 dst_sel:DWORD dst_unused:UNUSED_PAD src0_sel:DWORD src1_sel:BYTE_0
	global_load_dwordx4 v[34:37], v34, s[8:9] offset:288
	v_lshlrev_b32_sdwa v38, v38, v43 dst_sel:DWORD dst_unused:UNUSED_PAD src0_sel:DWORD src1_sel:BYTE_0
	global_load_dwordx4 v[38:41], v38, s[8:9] offset:288
	s_movk_i32 s4, 0x3a8
	v_mov_b32_e32 v47, 3
	v_mul_u32_u24_e32 v44, 0x3a8, v44
	v_lshlrev_b32_e32 v23, 3, v23
	v_mul_u32_u24_sdwa v42, v42, s4 dst_sel:DWORD dst_unused:UNUSED_PAD src0_sel:WORD_0 src1_sel:DWORD
	v_mul_u32_u24_sdwa v45, v45, s4 dst_sel:DWORD dst_unused:UNUSED_PAD src0_sel:WORD_0 src1_sel:DWORD
	v_add3_u32 v23, 0, v44, v23
	v_lshlrev_b32_sdwa v43, v47, v43 dst_sel:DWORD dst_unused:UNUSED_PAD src0_sel:DWORD src1_sel:BYTE_0
	v_lshlrev_b32_sdwa v44, v47, v46 dst_sel:DWORD dst_unused:UNUSED_PAD src0_sel:DWORD src1_sel:BYTE_0
	v_add3_u32 v50, 0, v42, v43
	v_add3_u32 v51, 0, v45, v44
	s_mov_b32 s2, 0x3f5db3d7
	s_waitcnt lgkmcnt(0)
	s_barrier
	s_waitcnt vmcnt(2)
	v_pk_mul_f32 v[42:43], v[30:31], v[14:15] op_sel:[0,1]
	v_pk_mul_f32 v[44:45], v[32:33], v[28:29] op_sel:[0,1]
	v_pk_fma_f32 v[46:47], v[30:31], v[14:15], v[42:43] op_sel:[0,0,1] op_sel_hi:[1,1,0]
	v_pk_fma_f32 v[14:15], v[30:31], v[14:15], v[42:43] op_sel:[0,0,1] op_sel_hi:[1,0,0] neg_lo:[1,0,0] neg_hi:[1,0,0]
	v_pk_fma_f32 v[30:31], v[32:33], v[28:29], v[44:45] op_sel:[0,0,1] op_sel_hi:[1,1,0]
	v_pk_fma_f32 v[28:29], v[32:33], v[28:29], v[44:45] op_sel:[0,0,1] op_sel_hi:[1,0,0] neg_lo:[1,0,0] neg_hi:[1,0,0]
	v_mov_b32_e32 v47, v15
	v_mov_b32_e32 v31, v29
	s_waitcnt vmcnt(1)
	v_pk_mul_f32 v[14:15], v[34:35], v[12:13] op_sel:[0,1]
	v_pk_mul_f32 v[28:29], v[36:37], v[10:11] op_sel:[0,1]
	s_waitcnt vmcnt(0)
	v_pk_mul_f32 v[32:33], v[38:39], v[2:3] op_sel:[0,1]
	v_pk_mul_f32 v[42:43], v[40:41], v[8:9] op_sel:[0,1]
	v_pk_fma_f32 v[48:49], v[34:35], v[12:13], v[14:15] op_sel:[0,0,1] op_sel_hi:[1,1,0]
	v_pk_fma_f32 v[12:13], v[34:35], v[12:13], v[14:15] op_sel:[0,0,1] op_sel_hi:[1,0,0] neg_lo:[1,0,0] neg_hi:[1,0,0]
	v_pk_fma_f32 v[14:15], v[36:37], v[10:11], v[28:29] op_sel:[0,0,1] op_sel_hi:[1,1,0]
	v_pk_fma_f32 v[10:11], v[36:37], v[10:11], v[28:29] op_sel:[0,0,1] op_sel_hi:[1,0,0] neg_lo:[1,0,0] neg_hi:[1,0,0]
	;; [unrolled: 2-line block ×4, first 2 shown]
	v_mov_b32_e32 v49, v13
	v_mov_b32_e32 v15, v11
	;; [unrolled: 1-line block ×4, first 2 shown]
	v_pk_add_f32 v[8:9], v[4:5], v[28:29]
	v_pk_add_f32 v[10:11], v[28:29], v[32:33]
	v_pk_add_f32 v[12:13], v[28:29], v[32:33] neg_lo:[0,1] neg_hi:[0,1]
	v_pk_add_f32 v[28:29], v[48:49], v[14:15]
	v_pk_add_f32 v[36:37], v[48:49], v[14:15] neg_lo:[0,1] neg_hi:[0,1]
	v_pk_add_f32 v[2:3], v[6:7], v[48:49]
	v_pk_fma_f32 v[4:5], v[10:11], 0.5, v[4:5] op_sel_hi:[1,0,1] neg_lo:[1,0,0] neg_hi:[1,0,0]
	v_pk_mul_f32 v[10:11], v[12:13], s[2:3] op_sel_hi:[1,0]
	v_pk_fma_f32 v[6:7], v[28:29], 0.5, v[6:7] op_sel_hi:[1,0,1] neg_lo:[1,0,0] neg_hi:[1,0,0]
	v_pk_mul_f32 v[12:13], v[36:37], s[2:3] op_sel_hi:[1,0]
	v_pk_add_f32 v[2:3], v[2:3], v[14:15]
	v_pk_add_f32 v[14:15], v[4:5], v[10:11] op_sel:[0,1] op_sel_hi:[1,0] neg_lo:[0,1] neg_hi:[0,1]
	v_pk_add_f32 v[4:5], v[4:5], v[10:11] op_sel:[0,1] op_sel_hi:[1,0]
	v_pk_add_f32 v[10:11], v[6:7], v[12:13] op_sel:[0,1] op_sel_hi:[1,0] neg_lo:[0,1] neg_hi:[0,1]
	v_pk_add_f32 v[6:7], v[6:7], v[12:13] op_sel:[0,1] op_sel_hi:[1,0]
	v_pk_add_f32 v[8:9], v[8:9], v[32:33]
	v_mov_b32_e32 v12, v14
	v_mov_b32_e32 v13, v5
	;; [unrolled: 1-line block ×5, first 2 shown]
	ds_write2_b64 v50, v[8:9], v[12:13] offset1:39
	ds_write_b64 v50, v[4:5] offset:624
	ds_write2_b64 v51, v[2:3], v[14:15] offset1:39
	v_pk_add_f32 v[2:3], v[46:47], v[30:31]
	v_pk_add_f32 v[44:45], v[0:1], v[46:47]
	v_pk_fma_f32 v[0:1], v[2:3], 0.5, v[0:1] op_sel_hi:[1,0,1] neg_lo:[1,0,0] neg_hi:[1,0,0]
	v_pk_add_f32 v[2:3], v[46:47], v[30:31] neg_lo:[0,1] neg_hi:[0,1]
	v_pk_add_f32 v[34:35], v[44:45], v[30:31]
	v_pk_mul_f32 v[2:3], v[2:3], s[2:3] op_sel_hi:[1,0]
	v_mov_b32_e32 v7, v11
	v_pk_add_f32 v[4:5], v[0:1], v[2:3] op_sel:[0,1] op_sel_hi:[1,0] neg_lo:[0,1] neg_hi:[0,1]
	v_pk_add_f32 v[0:1], v[0:1], v[2:3] op_sel:[0,1] op_sel_hi:[1,0]
	v_mov_b32_e32 v2, v4
	v_mov_b32_e32 v3, v1
	;; [unrolled: 1-line block ×3, first 2 shown]
	ds_write_b64 v51, v[6:7] offset:624
	ds_write2_b64 v23, v[34:35], v[2:3] offset1:39
	ds_write_b64 v23, v[0:1] offset:624
	s_and_saveexec_b64 s[4:5], vcc
	s_cbranch_execz .LBB0_25
; %bb.24:
	v_add_u32_e32 v0, 0x15f, v24
	v_mul_u32_u24_sdwa v1, v0, s3 dst_sel:DWORD dst_unused:UNUSED_PAD src0_sel:WORD_0 src1_sel:DWORD
	v_sub_u16_sdwa v2, v0, v1 dst_sel:DWORD dst_unused:UNUSED_PAD src0_sel:DWORD src1_sel:WORD_1
	v_lshrrev_b16_e32 v2, 1, v2
	v_add_u16_sdwa v1, v2, v1 dst_sel:DWORD dst_unused:UNUSED_PAD src0_sel:DWORD src1_sel:WORD_1
	v_lshrrev_b16_e32 v5, 5, v1
	v_mul_lo_u16_e32 v1, 39, v5
	v_sub_u16_e32 v6, v0, v1
	v_lshlrev_b32_e32 v0, 4, v6
	global_load_dwordx4 v[0:3], v0, s[8:9] offset:288
	v_mul_lo_u16_e32 v5, 0x75, v5
	v_mov_b32_e32 v4, v27
	v_lshlrev_b32_e32 v5, 3, v5
	v_lshlrev_b32_e32 v6, 3, v6
	v_add3_u32 v10, 0, v6, v5
	s_waitcnt vmcnt(0)
	v_pk_mul_f32 v[4:5], v[4:5], v[0:1] op_sel_hi:[0,1]
	v_pk_mul_f32 v[6:7], v[16:17], v[2:3] op_sel:[1,0]
	v_pk_fma_f32 v[8:9], v[26:27], v[0:1], v[4:5] op_sel:[0,0,1] op_sel_hi:[1,1,0]
	v_pk_fma_f32 v[0:1], v[26:27], v[0:1], v[4:5] op_sel:[0,0,1] op_sel_hi:[0,1,0] neg_lo:[1,0,0] neg_hi:[1,0,0]
	v_pk_fma_f32 v[4:5], v[16:17], v[2:3], v[6:7] op_sel:[0,0,1] op_sel_hi:[1,1,0]
	v_pk_fma_f32 v[2:3], v[16:17], v[2:3], v[6:7] op_sel:[0,0,1] op_sel_hi:[0,1,0] neg_lo:[1,0,0] neg_hi:[1,0,0]
	v_mov_b32_e32 v9, v1
	v_mov_b32_e32 v5, v3
	v_pk_add_f32 v[0:1], v[18:19], v[8:9]
	v_pk_add_f32 v[2:3], v[8:9], v[4:5]
	v_pk_add_f32 v[6:7], v[8:9], v[4:5] neg_lo:[0,1] neg_hi:[0,1]
	v_pk_add_f32 v[0:1], v[0:1], v[4:5]
	v_pk_fma_f32 v[2:3], -0.5, v[2:3], v[18:19] op_sel_hi:[0,1,1]
	v_pk_mul_f32 v[4:5], v[6:7], s[2:3] op_sel_hi:[1,0]
	s_nop 0
	v_pk_add_f32 v[6:7], v[2:3], v[4:5] op_sel:[0,1] op_sel_hi:[1,0] neg_lo:[0,1] neg_hi:[0,1]
	v_pk_add_f32 v[2:3], v[2:3], v[4:5] op_sel:[0,1] op_sel_hi:[1,0]
	v_mov_b32_e32 v4, v6
	v_mov_b32_e32 v5, v3
	;; [unrolled: 1-line block ×3, first 2 shown]
	ds_write2_b64 v10, v[0:1], v[4:5] offset1:39
	ds_write_b64 v10, v[2:3] offset:624
.LBB0_25:
	s_or_b64 exec, exec, s[4:5]
	s_waitcnt lgkmcnt(0)
	s_barrier
	s_and_saveexec_b64 s[2:3], s[0:1]
	s_cbranch_execz .LBB0_27
; %bb.26:
	v_mul_u32_u24_e32 v0, 10, v24
	v_lshlrev_b32_e32 v0, 3, v0
	global_load_dwordx4 v[6:9], v0, s[8:9] offset:976
	global_load_dwordx4 v[10:13], v0, s[8:9] offset:912
	;; [unrolled: 1-line block ×5, first 2 shown]
	v_add_u32_e32 v4, 0x400, v25
	ds_read2_b64 v[0:3], v25 offset1:117
	v_add_u32_e32 v5, 0xc00, v25
	ds_read_b64 v[46:47], v25 offset:9360
	v_add_u32_e32 v18, 0x1c00, v25
	ds_read2_b64 v[34:37], v4 offset0:106 offset1:223
	ds_read2_b64 v[38:41], v5 offset0:84 offset1:201
	;; [unrolled: 1-line block ×3, first 2 shown]
	v_mov_b32_e32 v23, 0
	v_add_u32_e32 v19, 0x1400, v25
	v_lshl_add_u64 v[4:5], v[22:23], 3, v[20:21]
	ds_read2_b64 v[18:21], v19 offset0:62 offset1:179
	s_waitcnt lgkmcnt(3)
	v_mov_b32_e32 v22, v35
	s_mov_b32 s6, 0xbf0a6770
	s_mov_b32 s0, 0x3f575c64
	;; [unrolled: 1-line block ×12, first 2 shown]
	s_waitcnt vmcnt(4)
	v_mov_b32_e32 v24, v9
	s_waitcnt lgkmcnt(1)
	v_pk_mul_f32 v[48:49], v[44:45], v[6:7] op_sel:[0,1]
	s_waitcnt vmcnt(3)
	v_pk_mul_f32 v[64:65], v[10:11], v[2:3] op_sel:[0,1]
	v_pk_mul_f32 v[24:25], v[46:47], v[24:25] op_sel_hi:[1,0]
	s_waitcnt vmcnt(0)
	v_pk_mul_f32 v[62:63], v[30:31], v[40:41] op_sel:[0,1]
	v_mov_b32_e32 v50, v13
	v_mov_b32_e32 v51, v12
	v_pk_mul_f32 v[12:13], v[12:13], v[34:35] op_sel_hi:[1,0]
	v_pk_mul_f32 v[54:55], v[26:27], v[36:37] op_sel:[0,1]
	v_pk_fma_f32 v[66:67], v[6:7], v[44:45], v[48:49] op_sel:[0,0,1] op_sel_hi:[1,1,0]
	v_pk_fma_f32 v[6:7], v[6:7], v[44:45], v[48:49] op_sel:[0,0,1] op_sel_hi:[0,1,0] neg_lo:[0,0,1] neg_hi:[0,0,1]
	v_pk_fma_f32 v[48:49], v[30:31], v[40:41], v[62:63] op_sel:[0,0,1] op_sel_hi:[1,1,0]
	v_pk_fma_f32 v[30:31], v[30:31], v[40:41], v[62:63] op_sel:[0,0,1] op_sel_hi:[1,0,0] neg_lo:[1,0,0] neg_hi:[1,0,0]
	;; [unrolled: 2-line block ×4, first 2 shown]
	v_mov_b32_e32 v52, v17
	s_waitcnt lgkmcnt(0)
	v_pk_mul_f32 v[56:57], v[20:21], v[14:15] op_sel:[0,1]
	v_pk_mul_f32 v[58:59], v[28:29], v[38:39] op_sel:[0,1]
	v_mov_b32_e32 v60, v33
	v_pk_fma_f32 v[22:23], v[50:51], v[22:23], v[12:13]
	v_pk_fma_f32 v[12:13], v[50:51], v[34:35], v[12:13] op_sel:[0,1,0] neg_lo:[0,0,1] neg_hi:[0,0,1]
	v_pk_fma_f32 v[44:45], v[26:27], v[36:37], v[54:55] op_sel:[0,0,1] op_sel_hi:[1,1,0]
	v_pk_fma_f32 v[26:27], v[26:27], v[36:37], v[54:55] op_sel:[0,0,1] op_sel_hi:[1,0,0] neg_lo:[1,0,0] neg_hi:[1,0,0]
	v_mov_b32_e32 v41, v3
	v_mov_b32_e32 v11, v9
	v_pk_mul_f32 v[34:35], v[42:43], v[52:53] op_sel_hi:[1,0]
	v_pk_fma_f32 v[36:37], v[14:15], v[20:21], v[56:57] op_sel:[0,0,1] op_sel_hi:[1,1,0]
	v_pk_fma_f32 v[14:15], v[14:15], v[20:21], v[56:57] op_sel:[0,0,1] op_sel_hi:[0,1,0] neg_lo:[0,0,1] neg_hi:[0,0,1]
	v_pk_fma_f32 v[20:21], v[28:29], v[38:39], v[58:59] op_sel:[0,0,1] op_sel_hi:[1,1,0]
	v_pk_fma_f32 v[28:29], v[28:29], v[38:39], v[58:59] op_sel:[0,0,1] op_sel_hi:[1,0,0] neg_lo:[1,0,0] neg_hi:[1,0,0]
	v_pk_mul_f32 v[38:39], v[18:19], v[60:61] op_sel_hi:[1,0]
	v_mov_b32_e32 v67, v7
	v_mov_b32_e32 v23, v13
	;; [unrolled: 1-line block ×3, first 2 shown]
	v_pk_add_f32 v[26:27], v[40:41], v[10:11] neg_lo:[0,1] neg_hi:[0,1]
	v_pk_fma_f32 v[12:13], v[16:17], v[42:43], v[34:35] op_sel:[0,0,1] op_sel_hi:[1,1,0]
	v_pk_fma_f32 v[6:7], v[16:17], v[42:43], v[34:35] op_sel:[0,0,1] op_sel_hi:[0,1,0] neg_lo:[0,0,1] neg_hi:[0,0,1]
	v_mov_b32_e32 v37, v15
	v_mov_b32_e32 v21, v29
	v_pk_fma_f32 v[14:15], v[32:33], v[18:19], v[38:39] op_sel:[0,0,1] op_sel_hi:[1,1,0]
	v_pk_fma_f32 v[16:17], v[32:33], v[18:19], v[38:39] op_sel:[0,0,1] op_sel_hi:[0,1,0] neg_lo:[0,0,1] neg_hi:[0,0,1]
	v_pk_add_f32 v[8:9], v[22:23], v[66:67] neg_lo:[0,1] neg_hi:[0,1]
	v_pk_add_f32 v[28:29], v[40:41], v[10:11]
	v_pk_mul_f32 v[42:43], v[26:27], s[6:7] op_sel_hi:[1,0]
	v_mov_b32_e32 v13, v7
	v_mov_b32_e32 v15, v17
	v_pk_add_f32 v[16:17], v[22:23], v[66:67]
	v_pk_mul_f32 v[6:7], v[8:9], s[16:17] op_sel_hi:[1,0]
	v_pk_fma_f32 v[46:47], v[28:29], s[0:1], v[42:43] op_sel:[0,0,1] op_sel_hi:[1,0,0]
	v_pk_fma_f32 v[42:43], v[28:29], s[0:1], v[42:43] op_sel:[0,0,1] op_sel_hi:[1,0,0] neg_lo:[0,0,1] neg_hi:[0,0,1]
	v_pk_fma_f32 v[2:3], v[16:17], s[2:3], v[6:7] op_sel:[0,0,1] op_sel_hi:[1,0,0]
	v_pk_fma_f32 v[6:7], v[16:17], s[2:3], v[6:7] op_sel:[0,0,1] op_sel_hi:[1,0,0] neg_lo:[0,0,1] neg_hi:[0,0,1]
	v_mov_b32_e32 v52, v46
	v_mov_b32_e32 v53, v43
	;; [unrolled: 1-line block ×3, first 2 shown]
	v_pk_add_f32 v[30:31], v[44:45], v[12:13] neg_lo:[0,1] neg_hi:[0,1]
	v_mov_b32_e32 v50, v2
	v_mov_b32_e32 v51, v7
	v_pk_add_f32 v[52:53], v[52:53], v[0:1]
	v_pk_add_f32 v[40:41], v[40:41], v[0:1]
	;; [unrolled: 1-line block ×4, first 2 shown]
	v_pk_mul_f32 v[52:53], v[30:31], s[10:11] op_sel_hi:[1,0]
	v_pk_add_f32 v[22:23], v[40:41], v[22:23]
	v_pk_fma_f32 v[54:55], v[32:33], s[4:5], v[52:53] op_sel:[0,0,1] op_sel_hi:[1,0,0]
	v_pk_fma_f32 v[52:53], v[32:33], s[4:5], v[52:53] op_sel:[0,0,1] op_sel_hi:[1,0,0] neg_lo:[0,0,1] neg_hi:[0,0,1]
	v_pk_add_f32 v[22:23], v[22:23], v[44:45]
	v_pk_add_f32 v[18:19], v[20:21], v[36:37] neg_lo:[0,1] neg_hi:[0,1]
	v_pk_add_f32 v[24:25], v[20:21], v[36:37]
	v_mov_b32_e32 v56, v54
	v_mov_b32_e32 v57, v53
	v_pk_add_f32 v[20:21], v[22:23], v[20:21]
	v_pk_add_f32 v[50:51], v[50:51], v[56:57]
	v_pk_mul_f32 v[56:57], v[18:19], s[12:13] op_sel_hi:[1,0]
	v_pk_add_f32 v[20:21], v[20:21], v[48:49]
	v_pk_add_f32 v[34:35], v[48:49], v[14:15] neg_lo:[0,1] neg_hi:[0,1]
	v_pk_add_f32 v[38:39], v[48:49], v[14:15]
	v_pk_fma_f32 v[58:59], v[24:25], s[8:9], v[56:57] op_sel:[0,0,1] op_sel_hi:[1,0,0]
	v_pk_fma_f32 v[56:57], v[24:25], s[8:9], v[56:57] op_sel:[0,0,1] op_sel_hi:[1,0,0] neg_lo:[0,0,1] neg_hi:[0,0,1]
	v_pk_add_f32 v[14:15], v[20:21], v[14:15]
	v_mov_b32_e32 v60, v58
	v_mov_b32_e32 v61, v57
	v_pk_add_f32 v[14:15], v[36:37], v[14:15]
	v_pk_add_f32 v[50:51], v[50:51], v[60:61]
	v_pk_mul_f32 v[60:61], v[34:35], s[18:19] op_sel_hi:[1,0]
	v_pk_add_f32 v[12:13], v[12:13], v[14:15]
	v_pk_fma_f32 v[62:63], v[38:39], s[14:15], v[60:61] op_sel:[0,0,1] op_sel_hi:[1,0,0]
	v_pk_fma_f32 v[60:61], v[38:39], s[14:15], v[60:61] op_sel:[0,0,1] op_sel_hi:[1,0,0] neg_lo:[0,0,1] neg_hi:[0,0,1]
	v_pk_add_f32 v[12:13], v[66:67], v[12:13]
	v_mov_b32_e32 v64, v62
	v_mov_b32_e32 v65, v61
	v_pk_add_f32 v[10:11], v[10:11], v[12:13]
	v_pk_add_f32 v[50:51], v[50:51], v[64:65]
	global_store_dwordx2 v[4:5], v[10:11], off
	global_store_dwordx2 v[4:5], v[50:51], off offset:936
	v_pk_mul_f32 v[10:11], v[26:27], s[16:17] op_sel_hi:[1,0]
	v_pk_mul_f32 v[20:21], v[8:9], s[12:13] op_sel_hi:[1,0]
	v_pk_fma_f32 v[12:13], v[28:29], s[2:3], v[10:11] op_sel:[0,0,1] op_sel_hi:[1,0,0]
	v_pk_fma_f32 v[10:11], v[28:29], s[2:3], v[10:11] op_sel:[0,0,1] op_sel_hi:[1,0,0] neg_lo:[0,0,1] neg_hi:[0,0,1]
	v_mov_b32_e32 v14, v12
	v_mov_b32_e32 v15, v11
	v_pk_fma_f32 v[22:23], v[16:17], s[8:9], v[20:21] op_sel:[0,0,1] op_sel_hi:[1,0,0]
	v_pk_fma_f32 v[20:21], v[16:17], s[8:9], v[20:21] op_sel:[0,0,1] op_sel_hi:[1,0,0] neg_lo:[0,0,1] neg_hi:[0,0,1]
	v_pk_add_f32 v[14:15], v[14:15], v[0:1]
	v_mov_b32_e32 v36, v22
	v_mov_b32_e32 v37, v21
	s_mov_b32 s16, 0x3e903f40
	v_pk_add_f32 v[14:15], v[14:15], v[36:37]
	v_pk_mul_f32 v[36:37], v[30:31], s[16:17] op_sel_hi:[1,0]
	v_pk_mul_f32 v[70:71], v[8:9], s[16:17] op_sel_hi:[1,0]
	v_pk_fma_f32 v[40:41], v[32:33], s[14:15], v[36:37] op_sel:[0,0,1] op_sel_hi:[1,0,0]
	v_pk_fma_f32 v[36:37], v[32:33], s[14:15], v[36:37] op_sel:[0,0,1] op_sel_hi:[1,0,0] neg_lo:[0,0,1] neg_hi:[0,0,1]
	v_mov_b32_e32 v44, v40
	v_mov_b32_e32 v45, v37
	v_pk_add_f32 v[14:15], v[14:15], v[44:45]
	v_pk_mul_f32 v[44:45], v[18:19], s[20:21] op_sel_hi:[1,0]
	v_pk_fma_f32 v[72:73], v[16:17], s[14:15], v[70:71] op_sel:[0,0,1] op_sel_hi:[1,0,0]
	v_pk_fma_f32 v[48:49], v[24:25], s[4:5], v[44:45] op_sel:[0,0,1] op_sel_hi:[1,0,0]
	v_pk_fma_f32 v[44:45], v[24:25], s[4:5], v[44:45] op_sel:[0,0,1] op_sel_hi:[1,0,0] neg_lo:[0,0,1] neg_hi:[0,0,1]
	v_mov_b32_e32 v50, v48
	v_mov_b32_e32 v51, v45
	v_pk_add_f32 v[14:15], v[14:15], v[50:51]
	v_pk_mul_f32 v[50:51], v[34:35], s[22:23] op_sel_hi:[1,0]
	v_pk_fma_f32 v[70:71], v[16:17], s[14:15], v[70:71] op_sel:[0,0,1] op_sel_hi:[1,0,0] neg_lo:[0,0,1] neg_hi:[0,0,1]
	v_pk_fma_f32 v[64:65], v[38:39], s[0:1], v[50:51] op_sel:[0,0,1] op_sel_hi:[1,0,0]
	v_pk_fma_f32 v[50:51], v[38:39], s[0:1], v[50:51] op_sel:[0,0,1] op_sel_hi:[1,0,0] neg_lo:[0,0,1] neg_hi:[0,0,1]
	v_mov_b32_e32 v66, v64
	v_mov_b32_e32 v67, v51
	v_pk_add_f32 v[14:15], v[14:15], v[66:67]
	global_store_dwordx2 v[4:5], v[14:15], off offset:1872
	v_pk_mul_f32 v[14:15], v[26:27], s[10:11] op_sel_hi:[1,0]
	v_mov_b32_e32 v74, v72
	v_pk_fma_f32 v[66:67], v[28:29], s[4:5], v[14:15] op_sel:[0,0,1] op_sel_hi:[1,0,0]
	v_pk_fma_f32 v[14:15], v[28:29], s[4:5], v[14:15] op_sel:[0,0,1] op_sel_hi:[1,0,0] neg_lo:[0,0,1] neg_hi:[0,0,1]
	v_mov_b32_e32 v68, v66
	v_mov_b32_e32 v69, v15
	v_pk_add_f32 v[68:69], v[68:69], v[0:1]
	v_mov_b32_e32 v75, v71
	s_mov_b32 s16, 0x3f68dda4
	v_pk_add_f32 v[68:69], v[68:69], v[74:75]
	v_pk_mul_f32 v[74:75], v[30:31], s[16:17] op_sel_hi:[1,0]
	v_pk_mul_f32 v[90:91], v[8:9], s[20:21] op_sel_hi:[1,0]
	v_pk_fma_f32 v[76:77], v[32:33], s[2:3], v[74:75] op_sel:[0,0,1] op_sel_hi:[1,0,0]
	v_pk_fma_f32 v[74:75], v[32:33], s[2:3], v[74:75] op_sel:[0,0,1] op_sel_hi:[1,0,0] neg_lo:[0,0,1] neg_hi:[0,0,1]
	v_mov_b32_e32 v78, v76
	v_mov_b32_e32 v79, v75
	v_pk_add_f32 v[68:69], v[68:69], v[78:79]
	v_pk_mul_f32 v[78:79], v[18:19], s[6:7] op_sel_hi:[1,0]
	v_pk_fma_f32 v[92:93], v[16:17], s[4:5], v[90:91] op_sel:[0,0,1] op_sel_hi:[1,0,0]
	v_pk_fma_f32 v[80:81], v[24:25], s[0:1], v[78:79] op_sel:[0,0,1] op_sel_hi:[1,0,0]
	v_pk_fma_f32 v[78:79], v[24:25], s[0:1], v[78:79] op_sel:[0,0,1] op_sel_hi:[1,0,0] neg_lo:[0,0,1] neg_hi:[0,0,1]
	v_mov_b32_e32 v82, v80
	v_mov_b32_e32 v83, v79
	v_pk_add_f32 v[68:69], v[68:69], v[82:83]
	v_pk_mul_f32 v[82:83], v[34:35], s[12:13] op_sel_hi:[1,0]
	v_pk_fma_f32 v[90:91], v[16:17], s[4:5], v[90:91] op_sel:[0,0,1] op_sel_hi:[1,0,0] neg_lo:[0,0,1] neg_hi:[0,0,1]
	v_pk_fma_f32 v[84:85], v[38:39], s[8:9], v[82:83] op_sel:[0,0,1] op_sel_hi:[1,0,0]
	v_pk_fma_f32 v[82:83], v[38:39], s[8:9], v[82:83] op_sel:[0,0,1] op_sel_hi:[1,0,0] neg_lo:[0,0,1] neg_hi:[0,0,1]
	v_mov_b32_e32 v86, v84
	v_mov_b32_e32 v87, v83
	v_pk_add_f32 v[68:69], v[68:69], v[86:87]
	global_store_dwordx2 v[4:5], v[68:69], off offset:2808
	v_pk_mul_f32 v[68:69], v[26:27], s[12:13] op_sel_hi:[1,0]
	v_mov_b32_e32 v94, v92
	v_pk_fma_f32 v[86:87], v[28:29], s[8:9], v[68:69] op_sel:[0,0,1] op_sel_hi:[1,0,0]
	v_pk_fma_f32 v[68:69], v[28:29], s[8:9], v[68:69] op_sel:[0,0,1] op_sel_hi:[1,0,0] neg_lo:[0,0,1] neg_hi:[0,0,1]
	v_mov_b32_e32 v88, v86
	v_mov_b32_e32 v89, v69
	v_pk_add_f32 v[88:89], v[88:89], v[0:1]
	v_mov_b32_e32 v95, v91
	v_pk_add_f32 v[88:89], v[88:89], v[94:95]
	v_pk_mul_f32 v[94:95], v[30:31], s[6:7] op_sel_hi:[1,0]
	v_pk_mul_f32 v[26:27], v[26:27], s[18:19] op_sel_hi:[1,0]
	v_pk_fma_f32 v[96:97], v[32:33], s[0:1], v[94:95] op_sel:[0,0,1] op_sel_hi:[1,0,0]
	v_pk_fma_f32 v[94:95], v[32:33], s[0:1], v[94:95] op_sel:[0,0,1] op_sel_hi:[1,0,0] neg_lo:[0,0,1] neg_hi:[0,0,1]
	v_mov_b32_e32 v98, v96
	v_mov_b32_e32 v99, v95
	v_pk_add_f32 v[88:89], v[88:89], v[98:99]
	v_pk_mul_f32 v[98:99], v[18:19], s[18:19] op_sel_hi:[1,0]
	v_pk_mul_f32 v[8:9], v[8:9], s[22:23] op_sel_hi:[1,0]
	v_pk_fma_f32 v[100:101], v[24:25], s[14:15], v[98:99] op_sel:[0,0,1] op_sel_hi:[1,0,0]
	v_pk_fma_f32 v[98:99], v[24:25], s[14:15], v[98:99] op_sel:[0,0,1] op_sel_hi:[1,0,0] neg_lo:[0,0,1] neg_hi:[0,0,1]
	v_mov_b32_e32 v102, v100
	;; [unrolled: 7-line block ×3, first 2 shown]
	v_mov_b32_e32 v107, v103
	v_pk_add_f32 v[88:89], v[88:89], v[106:107]
	global_store_dwordx2 v[4:5], v[88:89], off offset:3744
	v_pk_fma_f32 v[88:89], v[28:29], s[14:15], v[26:27] op_sel:[0,0,1] op_sel_hi:[1,0,0]
	v_pk_fma_f32 v[26:27], v[28:29], s[14:15], v[26:27] op_sel:[0,0,1] op_sel_hi:[1,0,0] neg_lo:[0,0,1] neg_hi:[0,0,1]
	v_mov_b32_e32 v28, v88
	v_mov_b32_e32 v29, v27
	v_pk_fma_f32 v[106:107], v[16:17], s[0:1], v[8:9] op_sel:[0,0,1] op_sel_hi:[1,0,0]
	v_pk_fma_f32 v[8:9], v[16:17], s[0:1], v[8:9] op_sel:[0,0,1] op_sel_hi:[1,0,0] neg_lo:[0,0,1] neg_hi:[0,0,1]
	v_pk_add_f32 v[28:29], v[28:29], v[0:1]
	v_mov_b32_e32 v16, v106
	v_mov_b32_e32 v17, v9
	v_pk_add_f32 v[16:17], v[28:29], v[16:17]
	v_pk_fma_f32 v[28:29], v[32:33], s[8:9], v[30:31] op_sel:[0,0,1] op_sel_hi:[1,0,0]
	v_pk_fma_f32 v[30:31], v[32:33], s[8:9], v[30:31] op_sel:[0,0,1] op_sel_hi:[1,0,0] neg_lo:[0,0,1] neg_hi:[0,0,1]
	v_pk_mul_f32 v[18:19], v[18:19], s[16:17] op_sel_hi:[1,0]
	v_mov_b32_e32 v32, v28
	v_mov_b32_e32 v33, v31
	v_pk_add_f32 v[16:17], v[16:17], v[32:33]
	v_pk_fma_f32 v[32:33], v[24:25], s[2:3], v[18:19] op_sel:[0,0,1] op_sel_hi:[1,0,0]
	v_pk_fma_f32 v[18:19], v[24:25], s[2:3], v[18:19] op_sel:[0,0,1] op_sel_hi:[1,0,0] neg_lo:[0,0,1] neg_hi:[0,0,1]
	v_pk_mul_f32 v[34:35], v[34:35], s[10:11] op_sel_hi:[1,0]
	v_mov_b32_e32 v24, v32
	v_mov_b32_e32 v25, v19
	v_pk_add_f32 v[16:17], v[16:17], v[24:25]
	v_pk_fma_f32 v[24:25], v[38:39], s[4:5], v[34:35] op_sel:[0,0,1] op_sel_hi:[1,0,0]
	v_pk_fma_f32 v[34:35], v[38:39], s[4:5], v[34:35] op_sel:[0,0,1] op_sel_hi:[1,0,0] neg_lo:[0,0,1] neg_hi:[0,0,1]
	v_mov_b32_e32 v38, v24
	v_mov_b32_e32 v39, v35
	s_movk_i32 s0, 0x1000
	v_pk_add_f32 v[16:17], v[16:17], v[38:39]
	v_add_co_u32_e32 v38, vcc, s0, v4
	v_mov_b32_e32 v27, v89
	s_nop 0
	v_addc_co_u32_e32 v39, vcc, 0, v5, vcc
	global_store_dwordx2 v[38:39], v[16:17], off offset:584
	v_pk_add_f32 v[16:17], v[26:27], v[0:1]
	v_mov_b32_e32 v9, v107
	v_pk_add_f32 v[8:9], v[16:17], v[8:9]
	v_mov_b32_e32 v31, v29
	v_pk_add_f32 v[8:9], v[8:9], v[30:31]
	v_mov_b32_e32 v19, v33
	v_pk_add_f32 v[8:9], v[8:9], v[18:19]
	v_mov_b32_e32 v35, v25
	v_pk_add_f32 v[8:9], v[8:9], v[34:35]
	v_mov_b32_e32 v69, v87
	global_store_dwordx2 v[38:39], v[8:9], off offset:1520
	v_pk_add_f32 v[8:9], v[68:69], v[0:1]
	v_mov_b32_e32 v91, v93
	v_pk_add_f32 v[8:9], v[8:9], v[90:91]
	v_mov_b32_e32 v95, v97
	v_pk_add_f32 v[8:9], v[8:9], v[94:95]
	v_mov_b32_e32 v99, v101
	v_pk_add_f32 v[8:9], v[8:9], v[98:99]
	v_mov_b32_e32 v103, v105
	v_pk_add_f32 v[8:9], v[8:9], v[102:103]
	v_mov_b32_e32 v15, v67
	;; [unrolled: 11-line block ×3, first 2 shown]
	v_mov_b32_e32 v43, v47
	global_store_dwordx2 v[38:39], v[8:9], off offset:3392
	v_pk_add_f32 v[8:9], v[10:11], v[0:1]
	v_mov_b32_e32 v21, v23
	v_pk_add_f32 v[0:1], v[42:43], v[0:1]
	v_mov_b32_e32 v7, v3
	;; [unrolled: 2-line block ×7, first 2 shown]
	v_add_co_u32_e32 v4, vcc, 0x2000, v4
	v_pk_add_f32 v[0:1], v[0:1], v[56:57]
	v_mov_b32_e32 v61, v63
	v_pk_add_f32 v[8:9], v[8:9], v[50:51]
	v_addc_co_u32_e32 v5, vcc, 0, v5, vcc
	v_pk_add_f32 v[0:1], v[0:1], v[60:61]
	global_store_dwordx2 v[4:5], v[8:9], off offset:232
	global_store_dwordx2 v[4:5], v[0:1], off offset:1168
.LBB0_27:
	s_endpgm
	.section	.rodata,"a",@progbits
	.p2align	6, 0x0
	.amdhsa_kernel fft_rtc_back_len1287_factors_3_13_3_11_wgs_117_tpt_117_sp_ip_CI_unitstride_sbrr_dirReg
		.amdhsa_group_segment_fixed_size 0
		.amdhsa_private_segment_fixed_size 0
		.amdhsa_kernarg_size 88
		.amdhsa_user_sgpr_count 2
		.amdhsa_user_sgpr_dispatch_ptr 0
		.amdhsa_user_sgpr_queue_ptr 0
		.amdhsa_user_sgpr_kernarg_segment_ptr 1
		.amdhsa_user_sgpr_dispatch_id 0
		.amdhsa_user_sgpr_kernarg_preload_length 0
		.amdhsa_user_sgpr_kernarg_preload_offset 0
		.amdhsa_user_sgpr_private_segment_size 0
		.amdhsa_uses_dynamic_stack 0
		.amdhsa_enable_private_segment 0
		.amdhsa_system_sgpr_workgroup_id_x 1
		.amdhsa_system_sgpr_workgroup_id_y 0
		.amdhsa_system_sgpr_workgroup_id_z 0
		.amdhsa_system_sgpr_workgroup_info 0
		.amdhsa_system_vgpr_workitem_id 0
		.amdhsa_next_free_vgpr 160
		.amdhsa_next_free_sgpr 52
		.amdhsa_accum_offset 160
		.amdhsa_reserve_vcc 1
		.amdhsa_float_round_mode_32 0
		.amdhsa_float_round_mode_16_64 0
		.amdhsa_float_denorm_mode_32 3
		.amdhsa_float_denorm_mode_16_64 3
		.amdhsa_dx10_clamp 1
		.amdhsa_ieee_mode 1
		.amdhsa_fp16_overflow 0
		.amdhsa_tg_split 0
		.amdhsa_exception_fp_ieee_invalid_op 0
		.amdhsa_exception_fp_denorm_src 0
		.amdhsa_exception_fp_ieee_div_zero 0
		.amdhsa_exception_fp_ieee_overflow 0
		.amdhsa_exception_fp_ieee_underflow 0
		.amdhsa_exception_fp_ieee_inexact 0
		.amdhsa_exception_int_div_zero 0
	.end_amdhsa_kernel
	.text
.Lfunc_end0:
	.size	fft_rtc_back_len1287_factors_3_13_3_11_wgs_117_tpt_117_sp_ip_CI_unitstride_sbrr_dirReg, .Lfunc_end0-fft_rtc_back_len1287_factors_3_13_3_11_wgs_117_tpt_117_sp_ip_CI_unitstride_sbrr_dirReg
                                        ; -- End function
	.section	.AMDGPU.csdata,"",@progbits
; Kernel info:
; codeLenInByte = 8724
; NumSgprs: 58
; NumVgprs: 160
; NumAgprs: 0
; TotalNumVgprs: 160
; ScratchSize: 0
; MemoryBound: 0
; FloatMode: 240
; IeeeMode: 1
; LDSByteSize: 0 bytes/workgroup (compile time only)
; SGPRBlocks: 7
; VGPRBlocks: 19
; NumSGPRsForWavesPerEU: 58
; NumVGPRsForWavesPerEU: 160
; AccumOffset: 160
; Occupancy: 3
; WaveLimiterHint : 1
; COMPUTE_PGM_RSRC2:SCRATCH_EN: 0
; COMPUTE_PGM_RSRC2:USER_SGPR: 2
; COMPUTE_PGM_RSRC2:TRAP_HANDLER: 0
; COMPUTE_PGM_RSRC2:TGID_X_EN: 1
; COMPUTE_PGM_RSRC2:TGID_Y_EN: 0
; COMPUTE_PGM_RSRC2:TGID_Z_EN: 0
; COMPUTE_PGM_RSRC2:TIDIG_COMP_CNT: 0
; COMPUTE_PGM_RSRC3_GFX90A:ACCUM_OFFSET: 39
; COMPUTE_PGM_RSRC3_GFX90A:TG_SPLIT: 0
	.text
	.p2alignl 6, 3212836864
	.fill 256, 4, 3212836864
	.type	__hip_cuid_90b46b9b88184b8d,@object ; @__hip_cuid_90b46b9b88184b8d
	.section	.bss,"aw",@nobits
	.globl	__hip_cuid_90b46b9b88184b8d
__hip_cuid_90b46b9b88184b8d:
	.byte	0                               ; 0x0
	.size	__hip_cuid_90b46b9b88184b8d, 1

	.ident	"AMD clang version 19.0.0git (https://github.com/RadeonOpenCompute/llvm-project roc-6.4.0 25133 c7fe45cf4b819c5991fe208aaa96edf142730f1d)"
	.section	".note.GNU-stack","",@progbits
	.addrsig
	.addrsig_sym __hip_cuid_90b46b9b88184b8d
	.amdgpu_metadata
---
amdhsa.kernels:
  - .agpr_count:     0
    .args:
      - .actual_access:  read_only
        .address_space:  global
        .offset:         0
        .size:           8
        .value_kind:     global_buffer
      - .offset:         8
        .size:           8
        .value_kind:     by_value
      - .actual_access:  read_only
        .address_space:  global
        .offset:         16
        .size:           8
        .value_kind:     global_buffer
      - .actual_access:  read_only
        .address_space:  global
        .offset:         24
        .size:           8
        .value_kind:     global_buffer
      - .offset:         32
        .size:           8
        .value_kind:     by_value
      - .actual_access:  read_only
        .address_space:  global
        .offset:         40
        .size:           8
        .value_kind:     global_buffer
      - .actual_access:  read_only
        .address_space:  global
        .offset:         48
        .size:           8
        .value_kind:     global_buffer
      - .offset:         56
        .size:           4
        .value_kind:     by_value
      - .actual_access:  read_only
        .address_space:  global
        .offset:         64
        .size:           8
        .value_kind:     global_buffer
      - .actual_access:  read_only
        .address_space:  global
        .offset:         72
        .size:           8
        .value_kind:     global_buffer
      - .address_space:  global
        .offset:         80
        .size:           8
        .value_kind:     global_buffer
    .group_segment_fixed_size: 0
    .kernarg_segment_align: 8
    .kernarg_segment_size: 88
    .language:       OpenCL C
    .language_version:
      - 2
      - 0
    .max_flat_workgroup_size: 117
    .name:           fft_rtc_back_len1287_factors_3_13_3_11_wgs_117_tpt_117_sp_ip_CI_unitstride_sbrr_dirReg
    .private_segment_fixed_size: 0
    .sgpr_count:     58
    .sgpr_spill_count: 0
    .symbol:         fft_rtc_back_len1287_factors_3_13_3_11_wgs_117_tpt_117_sp_ip_CI_unitstride_sbrr_dirReg.kd
    .uniform_work_group_size: 1
    .uses_dynamic_stack: false
    .vgpr_count:     160
    .vgpr_spill_count: 0
    .wavefront_size: 64
amdhsa.target:   amdgcn-amd-amdhsa--gfx950
amdhsa.version:
  - 1
  - 2
...

	.end_amdgpu_metadata
